;; amdgpu-corpus repo=ROCm/rocFFT kind=compiled arch=gfx1030 opt=O3
	.text
	.amdgcn_target "amdgcn-amd-amdhsa--gfx1030"
	.amdhsa_code_object_version 6
	.protected	bluestein_single_back_len1530_dim1_dp_op_CI_CI ; -- Begin function bluestein_single_back_len1530_dim1_dp_op_CI_CI
	.globl	bluestein_single_back_len1530_dim1_dp_op_CI_CI
	.p2align	8
	.type	bluestein_single_back_len1530_dim1_dp_op_CI_CI,@function
bluestein_single_back_len1530_dim1_dp_op_CI_CI: ; @bluestein_single_back_len1530_dim1_dp_op_CI_CI
; %bb.0:
	v_mul_u32_u24_e32 v1, 0x283, v0
	s_mov_b64 s[62:63], s[2:3]
	s_mov_b64 s[60:61], s[0:1]
	s_load_dwordx4 s[0:3], s[4:5], 0x28
	s_add_u32 s60, s60, s7
	v_lshrrev_b32_e32 v1, 16, v1
	s_addc_u32 s61, s61, 0
	v_mov_b32_e32 v4, 0
	v_add_nc_u32_e32 v3, s6, v1
	v_mov_b32_e32 v2, v3
	buffer_store_dword v2, off, s[60:63], 0 ; 4-byte Folded Spill
	buffer_store_dword v3, off, s[60:63], 0 offset:4 ; 4-byte Folded Spill
	s_waitcnt lgkmcnt(0)
	v_cmp_gt_u64_e32 vcc_lo, s[0:1], v[3:4]
	s_and_saveexec_b32 s0, vcc_lo
	s_cbranch_execz .LBB0_23
; %bb.1:
	s_clause 0x1
	s_load_dwordx2 s[12:13], s[4:5], 0x0
	s_load_dwordx2 s[14:15], s[4:5], 0x38
	v_mul_lo_u16 v1, 0x66, v1
	v_sub_nc_u16 v0, v0, v1
	v_and_b32_e32 v220, 0xffff, v0
	v_cmp_gt_u16_e32 vcc_lo, 0x5a, v0
	v_lshlrev_b32_e32 v255, 4, v220
	s_and_saveexec_b32 s1, vcc_lo
	s_cbranch_execz .LBB0_3
; %bb.2:
	s_load_dwordx2 s[6:7], s[4:5], 0x18
	s_waitcnt lgkmcnt(0)
	s_clause 0x1
	global_load_dwordx4 v[0:3], v255, s[12:13]
	global_load_dwordx4 v[4:7], v255, s[12:13] offset:1440
	v_add_co_u32 v8, s0, s12, v255
	v_add_co_ci_u32_e64 v9, null, s13, 0, s0
	v_add_co_u32 v10, s0, 0x800, v8
	v_add_co_ci_u32_e64 v11, s0, 0, v9, s0
	v_add_co_u32 v18, s0, 0x1000, v8
	v_add_co_ci_u32_e64 v19, s0, 0, v9, s0
	;; [unrolled: 2-line block ×3, first 2 shown]
	v_add_co_u32 v30, s0, 0x2000, v8
	s_load_dwordx4 s[8:11], s[6:7], 0x0
	s_clause 0x1
	buffer_load_dword v12, off, s[60:63], 0
	buffer_load_dword v13, off, s[60:63], 0 offset:4
	v_add_co_ci_u32_e64 v31, s0, 0, v9, s0
	v_add_co_u32 v34, s0, 0x2800, v8
	v_add_co_ci_u32_e64 v35, s0, 0, v9, s0
	v_add_co_u32 v38, s0, 0x3000, v8
	;; [unrolled: 2-line block ×4, first 2 shown]
	v_add_co_ci_u32_e64 v51, s0, 0, v9, s0
	s_waitcnt lgkmcnt(0)
	v_mad_u64_u32 v[40:41], null, s8, v220, 0
	v_add_co_u32 v118, s0, 0x4800, v8
	v_add_co_ci_u32_e64 v119, s0, 0, v9, s0
	s_mul_i32 s6, s9, 0x5a0
	s_mul_hi_u32 s7, s8, 0x5a0
	s_waitcnt vmcnt(0)
	v_mov_b32_e32 v13, v41
	s_add_i32 s7, s7, s6
	v_mov_b32_e32 v14, v12
	v_mad_u64_u32 v[36:37], null, s10, v14, 0
	v_mad_u64_u32 v[41:42], null, s9, v220, v[13:14]
	v_mov_b32_e32 v12, v37
	v_lshlrev_b64 v[40:41], 4, v[40:41]
	v_mad_u64_u32 v[24:25], null, s11, v14, v[12:13]
	s_clause 0x2
	global_load_dwordx4 v[10:13], v[10:11], off offset:832
	global_load_dwordx4 v[14:17], v[18:19], off offset:224
	;; [unrolled: 1-line block ×3, first 2 shown]
	v_mov_b32_e32 v37, v24
	s_clause 0x2
	global_load_dwordx4 v[22:25], v[22:23], off offset:1056
	global_load_dwordx4 v[26:29], v[30:31], off offset:448
	;; [unrolled: 1-line block ×3, first 2 shown]
	v_lshlrev_b64 v[42:43], 4, v[36:37]
	global_load_dwordx4 v[34:37], v[34:35], off offset:1280
	v_add_co_u32 v42, s0, s2, v42
	v_add_co_ci_u32_e64 v43, s0, s3, v43, s0
	s_mul_i32 s2, s8, 0x5a0
	v_add_co_u32 v58, s0, v42, v40
	v_add_co_ci_u32_e64 v59, s0, v43, v41, s0
	global_load_dwordx4 v[38:41], v[38:39], off offset:672
	v_add_co_u32 v62, s0, v58, s2
	v_add_co_ci_u32_e64 v63, s0, s7, v59, s0
	s_clause 0x1
	global_load_dwordx4 v[42:45], v[46:47], off offset:64
	global_load_dwordx4 v[46:49], v[46:47], off offset:1504
	v_add_co_u32 v66, s0, v62, s2
	v_add_co_ci_u32_e64 v67, s0, s7, v63, s0
	s_clause 0x1
	global_load_dwordx4 v[50:53], v[50:51], off offset:896
	global_load_dwordx4 v[54:57], v[118:119], off offset:288
	v_add_co_u32 v70, s0, v66, s2
	v_add_co_ci_u32_e64 v71, s0, s7, v67, s0
	s_clause 0x1
	global_load_dwordx4 v[58:61], v[58:59], off
	global_load_dwordx4 v[62:65], v[62:63], off
	v_add_co_u32 v74, s0, v70, s2
	v_add_co_ci_u32_e64 v75, s0, s7, v71, s0
	s_clause 0x1
	global_load_dwordx4 v[66:69], v[66:67], off
	global_load_dwordx4 v[70:73], v[70:71], off
	v_add_co_u32 v78, s0, v74, s2
	v_add_co_ci_u32_e64 v79, s0, s7, v75, s0
	global_load_dwordx4 v[74:77], v[74:75], off
	v_add_co_u32 v82, s0, v78, s2
	v_add_co_ci_u32_e64 v83, s0, s7, v79, s0
	;; [unrolled: 3-line block ×7, first 2 shown]
	v_add_co_u32 v106, s0, v102, s2
	v_add_co_ci_u32_e64 v107, s0, s7, v103, s0
	v_add_co_u32 v110, s0, v106, s2
	v_add_co_ci_u32_e64 v111, s0, s7, v107, s0
	;; [unrolled: 2-line block ×3, first 2 shown]
	global_load_dwordx4 v[98:101], v[98:99], off
	global_load_dwordx4 v[102:105], v[102:103], off
	;; [unrolled: 1-line block ×5, first 2 shown]
	v_add_co_u32 v122, s0, v120, s2
	v_add_co_ci_u32_e64 v123, s0, s7, v121, s0
	v_add_co_u32 v126, s0, 0x5000, v8
	v_add_co_ci_u32_e64 v127, s0, 0, v9, s0
	;; [unrolled: 2-line block ×4, first 2 shown]
	global_load_dwordx4 v[118:121], v[118:119], off offset:1728
	global_load_dwordx4 v[122:125], v[122:123], off
	s_clause 0x1
	global_load_dwordx4 v[126:129], v[126:127], off offset:1120
	global_load_dwordx4 v[130:133], v[8:9], off offset:512
	global_load_dwordx4 v[134:137], v[134:135], off
	s_waitcnt vmcnt(19)
	v_mul_f64 v[8:9], v[60:61], v[2:3]
	v_mul_f64 v[2:3], v[58:59], v[2:3]
	s_waitcnt vmcnt(18)
	v_mul_f64 v[138:139], v[64:65], v[6:7]
	v_mul_f64 v[140:141], v[62:63], v[6:7]
	s_waitcnt vmcnt(17)
	v_mul_f64 v[142:143], v[68:69], v[12:13]
	v_mul_f64 v[12:13], v[66:67], v[12:13]
	s_waitcnt vmcnt(16)
	v_mul_f64 v[144:145], v[72:73], v[16:17]
	v_mul_f64 v[16:17], v[70:71], v[16:17]
	s_waitcnt vmcnt(15)
	v_mul_f64 v[146:147], v[76:77], v[20:21]
	v_mul_f64 v[20:21], v[74:75], v[20:21]
	s_waitcnt vmcnt(14)
	v_mul_f64 v[148:149], v[80:81], v[24:25]
	v_mul_f64 v[24:25], v[78:79], v[24:25]
	v_fma_f64 v[6:7], v[58:59], v[0:1], v[8:9]
	v_fma_f64 v[8:9], v[60:61], v[0:1], -v[2:3]
	v_fma_f64 v[0:1], v[62:63], v[4:5], v[138:139]
	v_fma_f64 v[2:3], v[64:65], v[4:5], -v[140:141]
	s_waitcnt vmcnt(13)
	v_mul_f64 v[4:5], v[84:85], v[28:29]
	v_mul_f64 v[28:29], v[82:83], v[28:29]
	s_waitcnt vmcnt(12)
	v_mul_f64 v[62:63], v[88:89], v[32:33]
	v_mul_f64 v[32:33], v[86:87], v[32:33]
	v_fma_f64 v[58:59], v[66:67], v[10:11], v[142:143]
	v_fma_f64 v[60:61], v[68:69], v[10:11], -v[12:13]
	s_waitcnt vmcnt(11)
	v_mul_f64 v[64:65], v[92:93], v[36:37]
	v_mul_f64 v[36:37], v[90:91], v[36:37]
	v_fma_f64 v[10:11], v[70:71], v[14:15], v[144:145]
	v_fma_f64 v[12:13], v[72:73], v[14:15], -v[16:17]
	v_fma_f64 v[14:15], v[74:75], v[18:19], v[146:147]
	s_waitcnt vmcnt(10)
	v_mul_f64 v[66:67], v[96:97], v[40:41]
	v_mul_f64 v[40:41], v[94:95], v[40:41]
	v_fma_f64 v[16:17], v[76:77], v[18:19], -v[20:21]
	v_fma_f64 v[18:19], v[78:79], v[22:23], v[148:149]
	v_fma_f64 v[20:21], v[80:81], v[22:23], -v[24:25]
	v_fma_f64 v[22:23], v[82:83], v[26:27], v[4:5]
	;; [unrolled: 2-line block ×3, first 2 shown]
	v_fma_f64 v[28:29], v[88:89], v[30:31], -v[32:33]
	s_waitcnt vmcnt(9)
	v_mul_f64 v[68:69], v[100:101], v[44:45]
	v_mul_f64 v[44:45], v[98:99], v[44:45]
	s_waitcnt vmcnt(8)
	v_mul_f64 v[70:71], v[104:105], v[48:49]
	v_mul_f64 v[48:49], v[102:103], v[48:49]
	;; [unrolled: 3-line block ×4, first 2 shown]
	v_fma_f64 v[30:31], v[90:91], v[34:35], v[64:65]
	v_fma_f64 v[32:33], v[92:93], v[34:35], -v[36:37]
	v_fma_f64 v[34:35], v[94:95], v[38:39], v[66:67]
	v_fma_f64 v[36:37], v[96:97], v[38:39], -v[40:41]
	s_waitcnt vmcnt(4)
	v_mul_f64 v[76:77], v[116:117], v[120:121]
	v_mul_f64 v[78:79], v[114:115], v[120:121]
	s_waitcnt vmcnt(2)
	v_mul_f64 v[80:81], v[124:125], v[128:129]
	v_mul_f64 v[120:121], v[122:123], v[128:129]
	;; [unrolled: 3-line block ×3, first 2 shown]
	v_fma_f64 v[38:39], v[98:99], v[42:43], v[68:69]
	v_fma_f64 v[40:41], v[100:101], v[42:43], -v[44:45]
	v_fma_f64 v[42:43], v[102:103], v[46:47], v[70:71]
	v_fma_f64 v[44:45], v[104:105], v[46:47], -v[48:49]
	;; [unrolled: 2-line block ×7, first 2 shown]
	ds_write_b128 v255, v[6:9]
	ds_write_b128 v255, v[0:3] offset:1440
	ds_write_b128 v255, v[58:61] offset:2880
	;; [unrolled: 1-line block ×16, first 2 shown]
.LBB0_3:
	s_or_b32 exec_lo, exec_lo, s1
	s_clause 0x1
	s_load_dwordx2 s[0:1], s[4:5], 0x20
	s_load_dwordx2 s[2:3], s[4:5], 0x8
	s_waitcnt lgkmcnt(0)
	s_waitcnt_vscnt null, 0x0
	s_barrier
	buffer_gl0_inv
                                        ; implicit-def: $vgpr20_vgpr21
                                        ; implicit-def: $vgpr64_vgpr65
                                        ; implicit-def: $vgpr60_vgpr61
                                        ; implicit-def: $vgpr56_vgpr57
                                        ; implicit-def: $vgpr52_vgpr53
                                        ; implicit-def: $vgpr48_vgpr49
                                        ; implicit-def: $vgpr44_vgpr45
                                        ; implicit-def: $vgpr40_vgpr41
                                        ; implicit-def: $vgpr36_vgpr37
                                        ; implicit-def: $vgpr32_vgpr33
                                        ; implicit-def: $vgpr28_vgpr29
                                        ; implicit-def: $vgpr24_vgpr25
                                        ; implicit-def: $vgpr16_vgpr17
                                        ; implicit-def: $vgpr12_vgpr13
                                        ; implicit-def: $vgpr8_vgpr9
                                        ; implicit-def: $vgpr4_vgpr5
                                        ; implicit-def: $vgpr0_vgpr1
	s_and_saveexec_b32 s4, vcc_lo
	s_cbranch_execz .LBB0_5
; %bb.4:
	ds_read_b128 v[20:23], v255
	ds_read_b128 v[64:67], v255 offset:1440
	ds_read_b128 v[60:63], v255 offset:2880
	;; [unrolled: 1-line block ×16, first 2 shown]
.LBB0_5:
	s_or_b32 exec_lo, exec_lo, s4
	s_waitcnt lgkmcnt(0)
	v_add_f64 v[82:83], v[66:67], -v[2:3]
	v_add_f64 v[78:79], v[64:65], -v[0:1]
	s_mov_b32 s6, 0x5d8e7cdc
	s_mov_b32 s4, 0x2a9d6da3
	;; [unrolled: 1-line block ×4, first 2 shown]
	v_add_f64 v[76:77], v[64:65], v[0:1]
	v_add_f64 v[80:81], v[66:67], v[2:3]
	v_add_f64 v[74:75], v[62:63], -v[6:7]
	v_add_f64 v[72:73], v[60:61], -v[4:5]
	s_mov_b32 s10, 0x370991
	s_mov_b32 s8, 0x75d4884
	;; [unrolled: 1-line block ×6, first 2 shown]
	v_add_f64 v[144:145], v[60:61], v[4:5]
	v_add_f64 v[202:203], v[62:63], v[6:7]
	v_add_f64 v[176:177], v[58:59], -v[10:11]
	v_add_f64 v[134:135], v[56:57], -v[8:9]
	s_mov_b32 s46, 0x7c9e640b
	s_mov_b32 s18, 0x3259b75e
	v_mul_f64 v[84:85], v[82:83], s[6:7]
	v_mul_f64 v[86:87], v[78:79], s[6:7]
	;; [unrolled: 1-line block ×4, first 2 shown]
	s_mov_b32 s28, 0x6c9a05f6
	s_mov_b32 s47, 0xbfeca52d
	;; [unrolled: 1-line block ×4, first 2 shown]
	v_mul_f64 v[118:119], v[74:75], s[4:5]
	v_mul_f64 v[128:129], v[72:73], s[4:5]
	;; [unrolled: 1-line block ×4, first 2 shown]
	v_add_f64 v[158:159], v[56:57], v[8:9]
	v_add_f64 v[200:201], v[58:59], v[10:11]
	v_add_f64 v[88:89], v[52:53], -v[12:13]
	v_add_f64 v[116:117], v[54:55], -v[14:15]
	s_mov_b32 s26, 0x2b2883cd
	s_mov_b32 s24, 0x6ed5f1bb
	v_mul_f64 v[124:125], v[176:177], s[46:47]
	v_mul_f64 v[136:137], v[134:135], s[46:47]
	;; [unrolled: 1-line block ×4, first 2 shown]
	v_fma_f64 v[68:69], v[76:77], s[10:11], v[84:85]
	v_fma_f64 v[70:71], v[80:81], s[10:11], -v[86:87]
	v_fma_f64 v[90:91], v[76:77], s[8:9], v[204:205]
	v_fma_f64 v[92:93], v[80:81], s[8:9], -v[206:207]
	s_mov_b32 s40, 0xacd6c6b4
	s_mov_b32 s27, 0x3fdc86fa
	;; [unrolled: 1-line block ×4, first 2 shown]
	v_fma_f64 v[94:95], v[144:145], s[8:9], v[118:119]
	v_fma_f64 v[96:97], v[202:203], s[8:9], -v[128:129]
	v_fma_f64 v[100:101], v[144:145], s[18:19], v[120:121]
	v_fma_f64 v[102:103], v[202:203], s[18:19], -v[186:187]
	v_add_f64 v[98:99], v[52:53], v[12:13]
	v_add_f64 v[190:191], v[54:55], v[14:15]
	v_add_f64 v[126:127], v[50:51], -v[18:19]
	v_mul_f64 v[122:123], v[116:117], s[16:17]
	v_mul_f64 v[132:133], v[88:89], s[16:17]
	;; [unrolled: 1-line block ×4, first 2 shown]
	v_fma_f64 v[106:107], v[158:159], s[26:27], v[124:125]
	v_fma_f64 v[110:111], v[200:201], s[26:27], -v[136:137]
	v_fma_f64 v[112:113], v[158:159], s[24:25], v[154:155]
	v_add_f64 v[68:69], v[20:21], v[68:69]
	v_add_f64 v[70:71], v[22:23], v[70:71]
	;; [unrolled: 1-line block ×4, first 2 shown]
	v_add_f64 v[90:91], v[48:49], -v[16:17]
	v_fma_f64 v[114:115], v[200:201], s[24:25], -v[180:181]
	s_mov_b32 s34, 0x923c349f
	s_mov_b32 s20, 0x4363dd80
	;; [unrolled: 1-line block ×6, first 2 shown]
	v_add_f64 v[108:109], v[48:49], v[16:17]
	v_add_f64 v[192:193], v[50:51], v[18:19]
	v_add_f64 v[156:157], v[46:47], -v[26:27]
	v_mul_f64 v[130:131], v[126:127], s[34:35]
	v_mul_f64 v[148:149], v[126:127], s[20:21]
	s_mov_b32 s36, 0xc61f0d01
	v_fma_f64 v[142:143], v[190:191], s[44:45], -v[188:189]
	s_mov_b32 s22, 0x910ea3b9
	s_mov_b32 s37, 0xbfd183b1
	;; [unrolled: 1-line block ×3, first 2 shown]
	v_add_f64 v[68:69], v[94:95], v[68:69]
	v_add_f64 v[70:71], v[96:97], v[70:71]
	;; [unrolled: 1-line block ×4, first 2 shown]
	v_add_f64 v[94:95], v[44:45], -v[24:25]
	v_mul_f64 v[138:139], v[90:91], s[34:35]
	v_mul_f64 v[174:175], v[90:91], s[20:21]
	v_fma_f64 v[100:101], v[98:99], s[18:19], v[122:123]
	v_fma_f64 v[102:103], v[190:191], s[18:19], -v[132:133]
	v_fma_f64 v[104:105], v[98:99], s[44:45], v[166:167]
	s_mov_b32 s43, 0x3feec746
	s_mov_b32 s42, s34
	v_add_f64 v[194:195], v[46:47], v[26:27]
	v_add_f64 v[162:163], v[42:43], -v[30:31]
	v_mul_f64 v[140:141], v[156:157], s[28:29]
	v_mul_f64 v[160:161], v[156:157], s[42:43]
	v_fma_f64 v[168:169], v[108:109], s[22:23], v[148:149]
	s_mov_b32 s31, 0xbfe0d888
	s_mov_b32 s49, 0x3feca52d
	;; [unrolled: 1-line block ×4, first 2 shown]
	v_add_f64 v[196:197], v[42:43], v[30:31]
	v_add_f64 v[68:69], v[106:107], v[68:69]
	;; [unrolled: 1-line block ×6, first 2 shown]
	v_add_f64 v[96:97], v[40:41], -v[28:29]
	v_mul_f64 v[150:151], v[94:95], s[28:29]
	v_mul_f64 v[178:179], v[94:95], s[42:43]
	v_fma_f64 v[112:113], v[108:109], s[36:37], v[130:131]
	v_fma_f64 v[152:153], v[192:193], s[36:37], -v[138:139]
	v_fma_f64 v[184:185], v[192:193], s[22:23], -v[174:175]
	v_add_f64 v[114:115], v[40:41], v[28:29]
	v_add_f64 v[172:173], v[38:39], -v[34:35]
	v_mul_f64 v[146:147], v[162:163], s[30:31]
	v_mul_f64 v[170:171], v[162:163], s[48:49]
	s_mov_b32 s39, 0x3fd71e95
	s_mov_b32 s38, s6
	v_add_f64 v[198:199], v[38:39], v[34:35]
	s_barrier
	buffer_gl0_inv
	v_add_f64 v[68:69], v[100:101], v[68:69]
	v_add_f64 v[70:71], v[102:103], v[70:71]
	;; [unrolled: 1-line block ×4, first 2 shown]
	v_add_f64 v[92:93], v[36:37], -v[32:33]
	v_mul_f64 v[164:165], v[96:97], s[30:31]
	v_mul_f64 v[182:183], v[96:97], s[48:49]
	v_fma_f64 v[104:105], v[110:111], s[24:25], v[140:141]
	v_fma_f64 v[106:107], v[194:195], s[24:25], -v[150:151]
	v_fma_f64 v[208:209], v[110:111], s[36:37], v[160:161]
	v_fma_f64 v[210:211], v[194:195], s[36:37], -v[178:179]
	v_mul_f64 v[142:143], v[172:173], s[40:41]
	v_fma_f64 v[212:213], v[114:115], s[22:23], v[146:147]
	v_fma_f64 v[216:217], v[114:115], s[26:27], v[170:171]
	v_add_f64 v[68:69], v[112:113], v[68:69]
	v_add_f64 v[70:71], v[152:153], v[70:71]
	;; [unrolled: 1-line block ×5, first 2 shown]
	v_mul_f64 v[152:153], v[92:93], s[40:41]
	v_mul_f64 v[168:169], v[172:173], s[38:39]
	;; [unrolled: 1-line block ×3, first 2 shown]
	v_fma_f64 v[214:215], v[196:197], s[22:23], -v[164:165]
	v_fma_f64 v[218:219], v[196:197], s[26:27], -v[182:183]
	v_add_f64 v[68:69], v[104:105], v[68:69]
	v_add_f64 v[70:71], v[106:107], v[70:71]
	v_add_f64 v[100:101], v[208:209], v[100:101]
	v_add_f64 v[102:103], v[210:211], v[102:103]
	v_fma_f64 v[104:105], v[112:113], s[44:45], v[142:143]
	v_fma_f64 v[106:107], v[198:199], s[44:45], -v[152:153]
	v_fma_f64 v[208:209], v[112:113], s[10:11], v[168:169]
	v_fma_f64 v[210:211], v[198:199], s[10:11], -v[184:185]
	v_add_f64 v[68:69], v[212:213], v[68:69]
	v_add_f64 v[70:71], v[214:215], v[70:71]
	;; [unrolled: 1-line block ×8, first 2 shown]
	s_mov_b32 s33, exec_lo
	s_and_b32 s50, s33, vcc_lo
	buffer_store_dword v220, off, s[60:63], 0 offset:8 ; 4-byte Folded Spill
	s_mov_b32 exec_lo, s50
	s_cbranch_execz .LBB0_7
; %bb.6:
	v_mul_f64 v[208:209], v[80:81], s[44:45]
	v_mul_f64 v[230:231], v[82:83], s[40:41]
	s_mov_b32 s57, 0x3fc7851a
	s_mov_b32 s56, s40
	v_mul_f64 v[228:229], v[202:203], s[10:11]
	v_mul_f64 v[226:227], v[74:75], s[38:39]
	;; [unrolled: 1-line block ×4, first 2 shown]
	s_mov_b32 s51, 0x3fe58eea
	s_mov_b32 s50, s4
	v_mul_f64 v[218:219], v[190:191], s[8:9]
	v_mul_f64 v[220:221], v[116:117], s[50:51]
	;; [unrolled: 1-line block ×4, first 2 shown]
	s_mov_b32 s55, 0x3fe9895b
	s_mov_b32 s54, s28
	s_mov_b32 s53, 0x3fefdd0d
	s_mov_b32 s52, s16
	v_add_f64 v[66:67], v[22:23], v[66:67]
	v_add_f64 v[64:65], v[20:21], v[64:65]
	v_mul_f64 v[248:249], v[202:203], s[26:27]
	v_fma_f64 v[68:69], v[78:79], s[56:57], v[208:209]
	v_fma_f64 v[70:71], v[76:77], s[44:45], v[230:231]
	v_fma_f64 v[230:231], v[76:77], s[44:45], -v[230:231]
	v_fma_f64 v[210:211], v[72:73], s[6:7], v[228:229]
	v_fma_f64 v[212:213], v[144:145], s[10:11], v[226:227]
	;; [unrolled: 1-line block ×5, first 2 shown]
	v_fma_f64 v[226:227], v[144:145], s[10:11], -v[226:227]
	v_fma_f64 v[236:237], v[88:89], s[4:5], v[218:219]
	v_fma_f64 v[238:239], v[98:99], s[8:9], v[220:221]
	;; [unrolled: 1-line block ×5, first 2 shown]
	v_fma_f64 v[222:223], v[158:159], s[22:23], -v[222:223]
	v_fma_f64 v[218:219], v[88:89], s[50:51], v[218:219]
	v_fma_f64 v[220:221], v[98:99], s[8:9], -v[220:221]
	v_add_f64 v[250:251], v[66:67], v[62:63]
	v_add_f64 v[252:253], v[64:65], v[60:61]
	v_fma_f64 v[214:215], v[90:91], s[28:29], v[214:215]
	v_fma_f64 v[216:217], v[108:109], s[24:25], -v[216:217]
	v_add_f64 v[68:69], v[22:23], v[68:69]
	v_add_f64 v[70:71], v[20:21], v[70:71]
	;; [unrolled: 1-line block ×5, first 2 shown]
	v_mul_f64 v[212:213], v[194:195], s[26:27]
	v_mul_f64 v[210:211], v[156:157], s[48:49]
	v_add_f64 v[226:227], v[226:227], v[60:61]
	v_add_f64 v[68:69], v[232:233], v[68:69]
	;; [unrolled: 1-line block ×3, first 2 shown]
	v_fma_f64 v[232:233], v[94:95], s[46:47], v[212:213]
	v_fma_f64 v[234:235], v[110:111], s[26:27], v[210:211]
	v_add_f64 v[222:223], v[222:223], v[226:227]
	v_mul_f64 v[226:227], v[190:191], s[24:25]
	v_fma_f64 v[212:213], v[94:95], s[48:49], v[212:213]
	v_fma_f64 v[210:211], v[110:111], s[26:27], -v[210:211]
	v_add_f64 v[236:237], v[236:237], v[68:69]
	v_add_f64 v[238:239], v[238:239], v[70:71]
	v_mul_f64 v[70:71], v[196:197], s[36:37]
	v_mul_f64 v[68:69], v[162:163], s[34:35]
	v_add_f64 v[220:221], v[220:221], v[222:223]
	v_fma_f64 v[222:223], v[88:89], s[28:29], v[226:227]
	v_fma_f64 v[226:227], v[88:89], s[54:55], v[226:227]
	v_add_f64 v[236:237], v[240:241], v[236:237]
	v_add_f64 v[238:239], v[242:243], v[238:239]
	v_fma_f64 v[240:241], v[78:79], s[40:41], v[208:209]
	v_mul_f64 v[208:209], v[198:199], s[18:19]
	v_mul_f64 v[242:243], v[172:173], s[52:53]
	v_fma_f64 v[244:245], v[96:97], s[42:43], v[70:71]
	v_fma_f64 v[246:247], v[114:115], s[36:37], v[68:69]
	v_add_f64 v[216:217], v[216:217], v[220:221]
	v_mul_f64 v[220:221], v[194:195], s[44:45]
	v_fma_f64 v[70:71], v[96:97], s[34:35], v[70:71]
	v_fma_f64 v[68:69], v[114:115], s[36:37], -v[68:69]
	v_add_f64 v[232:233], v[232:233], v[236:237]
	v_add_f64 v[234:235], v[234:235], v[238:239]
	v_mul_f64 v[236:237], v[80:81], s[22:23]
	v_add_f64 v[238:239], v[22:23], v[240:241]
	v_mul_f64 v[240:241], v[82:83], s[30:31]
	v_fma_f64 v[62:63], v[92:93], s[16:17], v[208:209]
	v_fma_f64 v[64:65], v[112:113], s[18:19], v[242:243]
	v_add_f64 v[210:211], v[210:211], v[216:217]
	v_mul_f64 v[216:217], v[196:197], s[8:9]
	v_fma_f64 v[208:209], v[92:93], s[52:53], v[208:209]
	v_fma_f64 v[242:243], v[112:113], s[18:19], -v[242:243]
	v_add_f64 v[66:67], v[244:245], v[232:233]
	v_add_f64 v[230:231], v[246:247], v[234:235]
	v_mul_f64 v[232:233], v[74:75], s[48:49]
	v_fma_f64 v[234:235], v[78:79], s[20:21], v[236:237]
	v_add_f64 v[228:229], v[228:229], v[238:239]
	v_fma_f64 v[238:239], v[76:77], s[22:23], v[240:241]
	v_mul_f64 v[244:245], v[200:201], s[18:19]
	v_fma_f64 v[240:241], v[76:77], s[22:23], -v[240:241]
	v_add_f64 v[68:69], v[68:69], v[210:211]
	v_mul_f64 v[210:211], v[172:173], s[34:35]
	v_fma_f64 v[246:247], v[96:97], s[4:5], v[216:217]
	v_fma_f64 v[216:217], v[96:97], s[50:51], v[216:217]
	v_add_f64 v[62:63], v[62:63], v[66:67]
	v_add_f64 v[60:61], v[64:65], v[230:231]
	v_fma_f64 v[64:65], v[72:73], s[46:47], v[248:249]
	v_add_f64 v[66:67], v[22:23], v[234:235]
	v_fma_f64 v[230:231], v[144:145], s[26:27], v[232:233]
	v_add_f64 v[234:235], v[20:21], v[238:239]
	v_add_f64 v[224:225], v[224:225], v[228:229]
	v_mul_f64 v[228:229], v[176:177], s[16:17]
	v_mul_f64 v[238:239], v[192:193], s[10:11]
	v_fma_f64 v[232:233], v[144:145], s[26:27], -v[232:233]
	v_add_f64 v[240:241], v[20:21], v[240:241]
	v_add_f64 v[64:65], v[64:65], v[66:67]
	v_fma_f64 v[66:67], v[134:135], s[52:53], v[244:245]
	v_add_f64 v[230:231], v[230:231], v[234:235]
	v_add_f64 v[218:219], v[218:219], v[224:225]
	v_fma_f64 v[234:235], v[158:159], s[18:19], v[228:229]
	v_mul_f64 v[224:225], v[116:117], s[54:55]
	v_fma_f64 v[244:245], v[134:135], s[16:17], v[244:245]
	v_add_f64 v[232:233], v[232:233], v[240:241]
	v_mul_f64 v[240:241], v[80:81], s[24:25]
	v_fma_f64 v[228:229], v[158:159], s[18:19], -v[228:229]
	v_add_f64 v[64:65], v[66:67], v[64:65]
	v_fma_f64 v[66:67], v[78:79], s[30:31], v[236:237]
	v_add_f64 v[214:215], v[214:215], v[218:219]
	v_add_f64 v[230:231], v[234:235], v[230:231]
	v_fma_f64 v[234:235], v[98:99], s[24:25], v[224:225]
	v_mul_f64 v[218:219], v[126:127], s[6:7]
	v_fma_f64 v[236:237], v[72:73], s[48:49], v[248:249]
	v_mul_f64 v[248:249], v[82:83], s[28:29]
	v_add_f64 v[64:65], v[222:223], v[64:65]
	v_mul_f64 v[222:223], v[156:157], s[40:41]
	v_add_f64 v[66:67], v[22:23], v[66:67]
	v_add_f64 v[212:213], v[212:213], v[214:215]
	;; [unrolled: 1-line block ×3, first 2 shown]
	v_fma_f64 v[234:235], v[90:91], s[38:39], v[238:239]
	v_fma_f64 v[214:215], v[108:109], s[10:11], v[218:219]
	v_fma_f64 v[238:239], v[90:91], s[6:7], v[238:239]
	v_fma_f64 v[218:219], v[108:109], s[10:11], -v[218:219]
	v_add_f64 v[66:67], v[236:237], v[66:67]
	v_fma_f64 v[236:237], v[94:95], s[56:57], v[220:221]
	v_add_f64 v[70:71], v[70:71], v[212:213]
	v_add_f64 v[64:65], v[234:235], v[64:65]
	v_fma_f64 v[234:235], v[110:111], s[44:45], v[222:223]
	v_add_f64 v[214:215], v[214:215], v[230:231]
	v_mul_f64 v[230:231], v[162:163], s[50:51]
	v_mul_f64 v[212:213], v[198:199], s[36:37]
	v_fma_f64 v[220:221], v[94:95], s[40:41], v[220:221]
	v_fma_f64 v[222:223], v[110:111], s[44:45], -v[222:223]
	v_add_f64 v[244:245], v[244:245], v[66:67]
	v_add_f64 v[66:67], v[208:209], v[70:71]
	;; [unrolled: 1-line block ×5, first 2 shown]
	v_fma_f64 v[234:235], v[114:115], s[8:9], v[230:231]
	v_mul_f64 v[208:209], v[202:203], s[36:37]
	v_fma_f64 v[68:69], v[92:93], s[42:43], v[212:213]
	v_fma_f64 v[70:71], v[98:99], s[24:25], -v[224:225]
	v_add_f64 v[224:225], v[228:229], v[232:233]
	v_fma_f64 v[228:229], v[78:79], s[54:55], v[240:241]
	v_fma_f64 v[242:243], v[76:77], s[24:25], v[248:249]
	v_fma_f64 v[230:231], v[114:115], s[8:9], -v[230:231]
	v_fma_f64 v[240:241], v[78:79], s[28:29], v[240:241]
	v_fma_f64 v[212:213], v[92:93], s[34:35], v[212:213]
	v_add_f64 v[226:227], v[226:227], v[244:245]
	v_add_f64 v[232:233], v[246:247], v[236:237]
	v_fma_f64 v[236:237], v[112:113], s[36:37], v[210:211]
	v_fma_f64 v[210:211], v[112:113], s[36:37], -v[210:211]
	v_add_f64 v[214:215], v[234:235], v[214:215]
	v_mul_f64 v[234:235], v[74:75], s[42:43]
	v_fma_f64 v[244:245], v[72:73], s[34:35], v[208:209]
	v_fma_f64 v[208:209], v[72:73], s[42:43], v[208:209]
	v_add_f64 v[224:225], v[70:71], v[224:225]
	v_add_f64 v[228:229], v[22:23], v[228:229]
	;; [unrolled: 1-line block ×5, first 2 shown]
	v_mul_f64 v[238:239], v[176:177], s[6:7]
	v_add_f64 v[70:71], v[68:69], v[232:233]
	v_add_f64 v[68:69], v[236:237], v[214:215]
	v_mul_f64 v[214:215], v[200:201], s[10:11]
	v_fma_f64 v[232:233], v[144:145], s[36:37], v[234:235]
	v_add_f64 v[236:237], v[20:21], v[242:243]
	v_add_f64 v[218:219], v[218:219], v[224:225]
	v_mul_f64 v[224:225], v[190:191], s[22:23]
	v_add_f64 v[228:229], v[244:245], v[228:229]
	v_add_f64 v[244:245], v[250:251], v[58:59]
	v_mul_f64 v[250:251], v[156:157], s[4:5]
	;; [unrolled: 3-line block ×3, first 2 shown]
	v_add_f64 v[220:221], v[220:221], v[226:227]
	v_mul_f64 v[226:227], v[116:117], s[30:31]
	v_fma_f64 v[242:243], v[134:135], s[38:39], v[214:215]
	v_fma_f64 v[214:215], v[134:135], s[6:7], v[214:215]
	v_add_f64 v[232:233], v[232:233], v[236:237]
	v_fma_f64 v[236:237], v[158:159], s[10:11], v[238:239]
	v_add_f64 v[218:219], v[222:223], v[218:219]
	;; [unrolled: 2-line block ×3, first 2 shown]
	v_fma_f64 v[224:225], v[88:89], s[30:31], v[224:225]
	v_fma_f64 v[238:239], v[158:159], s[10:11], -v[238:239]
	v_add_f64 v[48:49], v[52:53], v[48:49]
	v_fma_f64 v[52:53], v[72:73], s[30:31], v[240:241]
	v_fma_f64 v[240:241], v[72:73], s[20:21], v[240:241]
	v_add_f64 v[216:217], v[216:217], v[220:221]
	v_fma_f64 v[220:221], v[98:99], s[22:23], v[226:227]
	v_fma_f64 v[226:227], v[98:99], s[22:23], -v[226:227]
	v_add_f64 v[228:229], v[242:243], v[228:229]
	v_mul_f64 v[242:243], v[192:193], s[18:19]
	v_add_f64 v[208:209], v[214:215], v[208:209]
	v_add_f64 v[232:233], v[236:237], v[232:233]
	v_mul_f64 v[236:237], v[126:127], s[52:53]
	v_add_f64 v[218:219], v[230:231], v[218:219]
	v_mul_f64 v[230:231], v[194:195], s[8:9]
	v_add_f64 v[50:51], v[54:55], v[50:51]
	v_add_f64 v[44:45], v[48:49], v[44:45]
	v_mul_f64 v[48:49], v[176:177], s[50:51]
	v_add_f64 v[58:59], v[212:213], v[216:217]
	v_mul_f64 v[212:213], v[80:81], s[36:37]
	v_add_f64 v[222:223], v[222:223], v[228:229]
	v_fma_f64 v[228:229], v[90:91], s[16:17], v[242:243]
	v_add_f64 v[208:209], v[224:225], v[208:209]
	v_add_f64 v[220:221], v[220:221], v[232:233]
	v_fma_f64 v[252:253], v[108:109], s[18:19], v[236:237]
	v_add_f64 v[56:57], v[210:211], v[218:219]
	v_mul_f64 v[210:211], v[196:197], s[44:45]
	v_fma_f64 v[216:217], v[94:95], s[50:51], v[230:231]
	v_fma_f64 v[232:233], v[76:77], s[24:25], -v[248:249]
	v_mul_f64 v[224:225], v[198:199], s[26:27]
	v_fma_f64 v[242:243], v[90:91], s[52:53], v[242:243]
	v_add_f64 v[46:47], v[50:51], v[46:47]
	v_mul_f64 v[248:249], v[80:81], s[18:19]
	v_add_f64 v[44:45], v[44:45], v[40:41]
	v_fma_f64 v[236:237], v[108:109], s[18:19], -v[236:237]
	v_fma_f64 v[244:245], v[78:79], s[42:43], v[212:213]
	v_fma_f64 v[212:213], v[78:79], s[34:35], v[212:213]
	v_add_f64 v[218:219], v[228:229], v[222:223]
	v_mul_f64 v[222:223], v[162:163], s[40:41]
	v_fma_f64 v[228:229], v[110:111], s[8:9], v[250:251]
	v_add_f64 v[220:221], v[252:253], v[220:221]
	v_fma_f64 v[246:247], v[96:97], s[56:57], v[210:211]
	v_fma_f64 v[210:211], v[96:97], s[40:41], v[210:211]
	v_add_f64 v[232:233], v[20:21], v[232:233]
	v_add_f64 v[208:209], v[242:243], v[208:209]
	v_fma_f64 v[242:243], v[92:93], s[46:47], v[224:225]
	v_add_f64 v[46:47], v[46:47], v[42:43]
	v_add_f64 v[36:37], v[44:45], v[36:37]
	v_fma_f64 v[224:225], v[92:93], s[48:49], v[224:225]
	v_add_f64 v[54:55], v[22:23], v[244:245]
	v_mul_f64 v[244:245], v[74:75], s[20:21]
	v_add_f64 v[212:213], v[22:23], v[212:213]
	v_add_f64 v[216:217], v[216:217], v[218:219]
	v_mul_f64 v[218:219], v[82:83], s[34:35]
	v_fma_f64 v[214:215], v[114:115], s[44:45], v[222:223]
	v_add_f64 v[220:221], v[228:229], v[220:221]
	v_fma_f64 v[228:229], v[144:145], s[36:37], -v[234:235]
	v_mul_f64 v[234:235], v[200:201], s[8:9]
	v_fma_f64 v[222:223], v[114:115], s[44:45], -v[222:223]
	v_add_f64 v[38:39], v[46:47], v[38:39]
	v_mul_f64 v[46:47], v[74:75], s[40:41]
	v_add_f64 v[32:33], v[36:37], v[32:33]
	v_mul_f64 v[36:37], v[176:177], s[42:43]
	;; [unrolled: 2-line block ×3, first 2 shown]
	v_fma_f64 v[50:51], v[144:145], s[22:23], v[244:245]
	v_add_f64 v[212:213], v[240:241], v[212:213]
	v_mul_f64 v[240:241], v[116:117], s[46:47]
	v_mul_f64 v[74:75], v[74:75], s[28:29]
	v_add_f64 v[216:217], v[246:247], v[216:217]
	v_fma_f64 v[246:247], v[76:77], s[36:37], v[218:219]
	v_fma_f64 v[218:219], v[76:77], s[36:37], -v[218:219]
	v_add_f64 v[214:215], v[214:215], v[220:221]
	v_add_f64 v[228:229], v[228:229], v[232:233]
	v_mul_f64 v[232:233], v[172:173], s[48:49]
	v_fma_f64 v[220:221], v[134:135], s[4:5], v[234:235]
	v_fma_f64 v[234:235], v[134:135], s[50:51], v[234:235]
	v_add_f64 v[34:35], v[38:39], v[34:35]
	v_fma_f64 v[38:39], v[144:145], s[44:45], v[46:47]
	v_add_f64 v[28:29], v[32:33], v[28:29]
	v_mul_f64 v[32:33], v[144:145], s[18:19]
	v_fma_f64 v[46:47], v[144:145], s[44:45], -v[46:47]
	v_fma_f64 v[252:253], v[88:89], s[48:49], v[54:55]
	v_fma_f64 v[54:55], v[88:89], s[46:47], v[54:55]
	v_add_f64 v[42:43], v[242:243], v[216:217]
	v_add_f64 v[246:247], v[20:21], v[246:247]
	v_fma_f64 v[216:217], v[94:95], s[4:5], v[230:231]
	v_mul_f64 v[230:231], v[202:203], s[44:45]
	v_add_f64 v[228:229], v[238:239], v[228:229]
	v_fma_f64 v[238:239], v[112:113], s[26:27], v[232:233]
	v_add_f64 v[52:53], v[220:221], v[52:53]
	v_mul_f64 v[220:221], v[192:193], s[44:45]
	v_fma_f64 v[242:243], v[98:99], s[26:27], v[240:241]
	v_add_f64 v[212:213], v[234:235], v[212:213]
	v_fma_f64 v[234:235], v[144:145], s[22:23], -v[244:245]
	v_mul_f64 v[244:245], v[76:77], s[10:11]
	v_add_f64 v[218:219], v[20:21], v[218:219]
	v_fma_f64 v[240:241], v[98:99], s[26:27], -v[240:241]
	v_add_f64 v[30:31], v[34:35], v[30:31]
	v_mul_f64 v[34:35], v[202:203], s[18:19]
	v_add_f64 v[24:25], v[28:29], v[24:25]
	v_mul_f64 v[28:29], v[200:201], s[44:45]
	v_add_f64 v[32:33], v[32:33], -v[120:121]
	v_mul_f64 v[120:121], v[162:163], s[6:7]
	v_fma_f64 v[232:233], v[112:113], s[26:27], -v[232:233]
	v_add_f64 v[50:51], v[50:51], v[246:247]
	v_fma_f64 v[246:247], v[158:159], s[8:9], v[48:49]
	v_add_f64 v[44:45], v[216:217], v[208:209]
	v_add_f64 v[226:227], v[226:227], v[228:229]
	;; [unrolled: 1-line block ×3, first 2 shown]
	v_fma_f64 v[228:229], v[78:79], s[52:53], v[248:249]
	v_add_f64 v[52:53], v[252:253], v[52:53]
	v_fma_f64 v[238:239], v[90:91], s[56:57], v[220:221]
	v_mul_f64 v[214:215], v[82:83], s[16:17]
	v_fma_f64 v[216:217], v[72:73], s[56:57], v[230:231]
	v_mul_f64 v[82:83], v[82:83], s[46:47]
	v_fma_f64 v[230:231], v[72:73], s[40:41], v[230:231]
	v_add_f64 v[54:55], v[54:55], v[212:213]
	v_mul_f64 v[212:213], v[76:77], s[8:9]
	v_fma_f64 v[220:221], v[90:91], s[40:41], v[220:221]
	v_add_f64 v[218:219], v[234:235], v[218:219]
	v_fma_f64 v[48:49], v[158:159], s[8:9], -v[48:49]
	v_mul_f64 v[234:235], v[194:195], s[18:19]
	v_add_f64 v[84:85], v[244:245], -v[84:85]
	v_mul_f64 v[244:245], v[116:117], s[38:39]
	v_add_f64 v[26:27], v[30:31], v[26:27]
	v_add_f64 v[34:35], v[186:187], v[34:35]
	v_mul_f64 v[116:117], v[116:117], s[42:43]
	v_add_f64 v[50:51], v[246:247], v[50:51]
	v_fma_f64 v[246:247], v[78:79], s[16:17], v[248:249]
	v_add_f64 v[226:227], v[236:237], v[226:227]
	v_mul_f64 v[236:237], v[80:81], s[26:27]
	v_add_f64 v[228:229], v[22:23], v[228:229]
	v_fma_f64 v[248:249], v[110:111], s[8:9], -v[250:251]
	v_add_f64 v[52:53], v[238:239], v[52:53]
	v_mul_f64 v[238:239], v[200:201], s[36:37]
	v_fma_f64 v[208:209], v[76:77], s[18:19], v[214:215]
	v_fma_f64 v[214:215], v[76:77], s[18:19], -v[214:215]
	v_add_f64 v[44:45], v[210:211], v[44:45]
	v_mul_f64 v[210:211], v[194:195], s[22:23]
	v_add_f64 v[204:205], v[212:213], -v[204:205]
	v_add_f64 v[54:55], v[220:221], v[54:55]
	v_mul_f64 v[220:221], v[192:193], s[26:27]
	v_add_f64 v[48:49], v[48:49], v[218:219]
	v_mul_f64 v[218:219], v[126:127], s[40:41]
	v_mul_f64 v[212:213], v[144:145], s[8:9]
	v_add_f64 v[16:17], v[24:25], v[16:17]
	v_add_f64 v[18:19], v[26:27], v[18:19]
	v_mul_f64 v[186:187], v[194:195], s[36:37]
	v_add_f64 v[50:51], v[242:243], v[50:51]
	v_mul_f64 v[242:243], v[80:81], s[8:9]
	;; [unrolled: 2-line block ×3, first 2 shown]
	v_add_f64 v[216:217], v[216:217], v[228:229]
	v_fma_f64 v[228:229], v[78:79], s[48:49], v[236:237]
	v_fma_f64 v[78:79], v[78:79], s[46:47], v[236:237]
	;; [unrolled: 1-line block ×3, first 2 shown]
	v_fma_f64 v[76:77], v[76:77], s[26:27], -v[82:83]
	v_fma_f64 v[82:83], v[134:135], s[34:35], v[238:239]
	v_fma_f64 v[238:239], v[134:135], s[42:43], v[238:239]
	v_add_f64 v[226:227], v[248:249], v[226:227]
	v_add_f64 v[208:209], v[20:21], v[208:209]
	;; [unrolled: 1-line block ×5, first 2 shown]
	v_fma_f64 v[240:241], v[108:109], s[44:45], v[218:219]
	v_fma_f64 v[218:219], v[108:109], s[44:45], -v[218:219]
	v_mul_f64 v[248:249], v[158:159], s[26:27]
	v_add_f64 v[118:119], v[212:213], -v[118:119]
	v_add_f64 v[14:15], v[18:19], v[14:15]
	v_add_f64 v[12:13], v[16:17], v[12:13]
	v_mul_f64 v[212:213], v[172:173], s[28:29]
	v_add_f64 v[206:207], v[206:207], v[242:243]
	v_mul_f64 v[242:243], v[190:191], s[10:11]
	v_add_f64 v[230:231], v[230:231], v[246:247]
	v_add_f64 v[80:81], v[86:87], v[80:81]
	v_mul_f64 v[86:87], v[202:203], s[8:9]
	v_add_f64 v[228:229], v[22:23], v[228:229]
	v_add_f64 v[78:79], v[22:23], v[78:79]
	v_fma_f64 v[246:247], v[94:95], s[16:17], v[234:235]
	v_add_f64 v[82:83], v[82:83], v[216:217]
	v_fma_f64 v[234:235], v[94:95], s[52:53], v[234:235]
	v_add_f64 v[222:223], v[222:223], v[226:227]
	v_mul_f64 v[226:227], v[190:191], s[18:19]
	v_add_f64 v[38:39], v[38:39], v[208:209]
	v_fma_f64 v[208:209], v[158:159], s[36:37], v[36:37]
	v_mul_f64 v[202:203], v[202:203], s[24:25]
	v_add_f64 v[236:237], v[20:21], v[236:237]
	v_add_f64 v[76:77], v[20:21], v[76:77]
	;; [unrolled: 1-line block ×3, first 2 shown]
	v_fma_f64 v[84:85], v[98:99], s[10:11], v[244:245]
	v_add_f64 v[50:51], v[240:241], v[50:51]
	v_add_f64 v[48:49], v[218:219], v[48:49]
	v_mul_f64 v[218:219], v[158:159], s[24:25]
	v_add_f64 v[206:207], v[22:23], v[206:207]
	v_fma_f64 v[216:217], v[88:89], s[6:7], v[242:243]
	v_fma_f64 v[242:243], v[88:89], s[38:39], v[242:243]
	v_add_f64 v[230:231], v[238:239], v[230:231]
	v_add_f64 v[22:23], v[22:23], v[80:81]
	;; [unrolled: 1-line block ×3, first 2 shown]
	v_mul_f64 v[80:81], v[126:127], s[46:47]
	v_mul_f64 v[238:239], v[156:157], s[52:53]
	v_add_f64 v[52:53], v[246:247], v[52:53]
	v_add_f64 v[54:55], v[234:235], v[54:55]
	v_add_f64 v[124:125], v[248:249], -v[124:125]
	v_add_f64 v[132:133], v[132:133], v[226:227]
	v_add_f64 v[32:33], v[32:33], v[204:205]
	;; [unrolled: 1-line block ×3, first 2 shown]
	v_mul_f64 v[208:209], v[196:197], s[10:11]
	v_fma_f64 v[30:31], v[72:73], s[28:29], v[202:203]
	v_fma_f64 v[72:73], v[72:73], s[54:55], v[202:203]
	v_add_f64 v[20:21], v[118:119], v[20:21]
	v_add_f64 v[46:47], v[46:47], v[214:215]
	v_fma_f64 v[36:37], v[158:159], s[36:37], -v[36:37]
	v_mul_f64 v[202:203], v[108:109], s[36:37]
	v_add_f64 v[154:155], v[218:219], -v[154:155]
	v_add_f64 v[34:35], v[34:35], v[206:207]
	v_add_f64 v[82:83], v[216:217], v[82:83]
	v_fma_f64 v[216:217], v[90:91], s[48:49], v[220:221]
	v_fma_f64 v[220:221], v[90:91], s[46:47], v[220:221]
	v_add_f64 v[230:231], v[242:243], v[230:231]
	v_mul_f64 v[242:243], v[200:201], s[26:27]
	v_add_f64 v[22:23], v[86:87], v[22:23]
	v_fma_f64 v[246:247], v[108:109], s[26:27], v[80:81]
	v_fma_f64 v[234:235], v[110:111], s[18:19], v[238:239]
	v_mul_f64 v[200:201], v[200:201], s[24:25]
	v_fma_f64 v[238:239], v[110:111], s[18:19], -v[238:239]
	v_mul_f64 v[126:127], v[126:127], s[50:51]
	v_fma_f64 v[244:245], v[98:99], s[10:11], -v[244:245]
	v_add_f64 v[38:39], v[84:85], v[38:39]
	v_fma_f64 v[240:241], v[96:97], s[38:39], v[208:209]
	v_fma_f64 v[208:209], v[96:97], s[6:7], v[208:209]
	v_mul_f64 v[84:85], v[156:157], s[30:31]
	v_add_f64 v[30:31], v[30:31], v[78:79]
	v_mul_f64 v[78:79], v[176:177], s[56:57]
	v_add_f64 v[72:73], v[72:73], v[228:229]
	v_add_f64 v[20:21], v[124:125], v[20:21]
	v_mul_f64 v[176:177], v[108:109], s[22:23]
	v_add_f64 v[32:33], v[154:155], v[32:33]
	v_add_f64 v[36:37], v[36:37], v[46:47]
	;; [unrolled: 1-line block ×3, first 2 shown]
	v_fma_f64 v[216:217], v[94:95], s[20:21], v[210:211]
	v_fma_f64 v[210:211], v[94:95], s[30:31], v[210:211]
	v_add_f64 v[220:221], v[220:221], v[230:231]
	v_add_f64 v[136:137], v[136:137], v[242:243]
	v_mul_f64 v[230:231], v[98:99], s[18:19]
	v_add_f64 v[50:51], v[234:235], v[50:51]
	v_mul_f64 v[234:235], v[190:191], s[44:45]
	v_mul_f64 v[190:191], v[190:191], s[36:37]
	v_add_f64 v[180:181], v[180:181], v[200:201]
	v_add_f64 v[48:49], v[238:239], v[48:49]
	;; [unrolled: 1-line block ×5, first 2 shown]
	v_fma_f64 v[208:209], v[144:145], s[24:25], v[74:75]
	v_fma_f64 v[74:75], v[144:145], s[24:25], -v[74:75]
	v_fma_f64 v[246:247], v[110:111], s[22:23], v[84:85]
	v_mul_f64 v[240:241], v[98:99], s[44:45]
	v_mul_f64 v[238:239], v[192:193], s[36:37]
	v_fma_f64 v[46:47], v[108:109], s[26:27], -v[80:81]
	v_mul_f64 v[144:145], v[194:195], s[24:25]
	v_add_f64 v[130:131], v[202:203], -v[130:131]
	v_mul_f64 v[214:215], v[110:111], s[36:37]
	v_add_f64 v[82:83], v[216:217], v[82:83]
	v_fma_f64 v[216:217], v[134:135], s[56:57], v[28:29]
	v_add_f64 v[210:211], v[210:211], v[220:221]
	v_mul_f64 v[220:221], v[110:111], s[24:25]
	v_add_f64 v[22:23], v[136:137], v[22:23]
	v_fma_f64 v[28:29], v[134:135], s[40:41], v[28:29]
	v_add_f64 v[122:123], v[230:231], -v[122:123]
	v_add_f64 v[188:189], v[188:189], v[234:235]
	v_add_f64 v[34:35], v[180:181], v[34:35]
	v_fma_f64 v[230:231], v[98:99], s[36:37], -v[116:117]
	v_fma_f64 v[80:81], v[88:89], s[34:35], v[190:191]
	v_add_f64 v[148:149], v[176:177], -v[148:149]
	v_fma_f64 v[124:125], v[108:109], s[8:9], -v[126:127]
	v_add_f64 v[208:209], v[208:209], v[236:237]
	v_add_f64 v[74:75], v[74:75], v[76:77]
	v_add_f64 v[38:39], v[246:247], v[38:39]
	v_mul_f64 v[246:247], v[192:193], s[22:23]
	v_mul_f64 v[192:193], v[192:193], s[8:9]
	v_add_f64 v[166:167], v[240:241], -v[166:167]
	v_fma_f64 v[240:241], v[88:89], s[42:43], v[190:191]
	v_fma_f64 v[88:89], v[98:99], s[36:37], v[116:117]
	v_add_f64 v[138:139], v[138:139], v[238:239]
	v_mul_f64 v[134:135], v[114:115], s[22:23]
	v_add_f64 v[30:31], v[216:217], v[30:31]
	v_fma_f64 v[216:217], v[158:159], s[44:45], v[78:79]
	v_fma_f64 v[78:79], v[158:159], s[44:45], -v[78:79]
	v_add_f64 v[22:23], v[132:133], v[22:23]
	v_add_f64 v[132:133], v[220:221], -v[140:141]
	buffer_load_dword v220, off, s[60:63], 0 offset:8 ; 4-byte Folded Reload
	v_add_f64 v[28:29], v[28:29], v[72:73]
	v_add_f64 v[20:21], v[122:123], v[20:21]
	;; [unrolled: 1-line block ×3, first 2 shown]
	v_mul_f64 v[72:73], v[156:157], s[6:7]
	v_mul_f64 v[228:229], v[196:197], s[22:23]
	;; [unrolled: 1-line block ×6, first 2 shown]
	v_add_f64 v[154:155], v[174:175], v[246:247]
	v_fma_f64 v[116:117], v[90:91], s[50:51], v[192:193]
	v_add_f64 v[24:25], v[166:167], v[32:33]
	v_add_f64 v[32:33], v[244:245], v[36:37]
	v_fma_f64 v[36:37], v[110:111], s[22:23], -v[84:85]
	v_fma_f64 v[84:85], v[90:91], s[4:5], v[192:193]
	v_fma_f64 v[90:91], v[108:109], s[8:9], v[126:127]
	v_add_f64 v[30:31], v[240:241], v[30:31]
	v_add_f64 v[98:99], v[216:217], v[208:209]
	;; [unrolled: 1-line block ×3, first 2 shown]
	v_mul_f64 v[78:79], v[194:195], s[10:11]
	v_add_f64 v[126:127], v[150:151], v[144:145]
	v_add_f64 v[22:23], v[138:139], v[22:23]
	;; [unrolled: 1-line block ×4, first 2 shown]
	v_add_f64 v[122:123], v[214:215], -v[160:161]
	v_mul_f64 v[80:81], v[162:163], s[16:17]
	v_fma_f64 v[108:109], v[110:111], s[10:11], -v[72:73]
	v_fma_f64 v[72:73], v[110:111], s[10:11], v[72:73]
	v_add_f64 v[10:11], v[14:15], v[10:11]
	v_add_f64 v[8:9], v[12:13], v[8:9]
	v_mul_f64 v[76:77], v[112:113], s[44:45]
	v_add_f64 v[34:35], v[154:155], v[34:35]
	v_mul_f64 v[200:201], v[198:199], s[44:45]
	v_add_f64 v[18:19], v[148:149], v[24:25]
	v_add_f64 v[24:25], v[46:47], v[32:33]
	v_mul_f64 v[234:235], v[198:199], s[8:9]
	v_fma_f64 v[180:181], v[96:97], s[28:29], v[206:207]
	v_fma_f64 v[206:207], v[96:97], s[54:55], v[206:207]
	v_add_f64 v[30:31], v[116:117], v[30:31]
	v_add_f64 v[88:89], v[88:89], v[98:99]
	;; [unrolled: 1-line block ×3, first 2 shown]
	v_fma_f64 v[98:99], v[94:95], s[6:7], v[78:79]
	v_mul_f64 v[74:75], v[196:197], s[18:19]
	v_add_f64 v[116:117], v[178:179], v[186:187]
	v_fma_f64 v[46:47], v[94:95], s[38:39], v[78:79]
	v_add_f64 v[28:29], v[84:85], v[28:29]
	v_add_f64 v[22:23], v[126:127], v[22:23]
	v_add_f64 v[110:111], v[134:135], -v[146:147]
	v_add_f64 v[12:13], v[132:133], v[16:17]
	v_mul_f64 v[218:219], v[112:113], s[10:11]
	v_mul_f64 v[242:243], v[198:199], s[10:11]
	v_fma_f64 v[136:137], v[114:115], s[24:25], v[86:87]
	v_add_f64 v[94:95], v[236:237], -v[170:171]
	v_mul_f64 v[32:33], v[198:199], s[22:23]
	v_mul_f64 v[78:79], v[172:173], s[30:31]
	v_add_f64 v[14:15], v[122:123], v[18:19]
	v_mul_f64 v[226:227], v[172:173], s[50:51]
	v_add_f64 v[18:19], v[36:37], v[24:25]
	v_mul_f64 v[128:129], v[198:199], s[24:25]
	v_fma_f64 v[204:205], v[114:115], s[10:11], v[120:121]
	v_fma_f64 v[120:121], v[114:115], s[10:11], -v[120:121]
	v_add_f64 v[84:85], v[90:91], v[88:89]
	v_add_f64 v[20:21], v[124:125], v[26:27]
	;; [unrolled: 1-line block ×4, first 2 shown]
	v_fma_f64 v[26:27], v[114:115], s[24:25], -v[86:87]
	v_fma_f64 v[86:87], v[96:97], s[16:17], v[74:75]
	v_add_f64 v[90:91], v[182:183], v[158:159]
	v_add_f64 v[34:35], v[116:117], v[34:35]
	v_fma_f64 v[88:89], v[114:115], s[18:19], -v[80:81]
	v_fma_f64 v[74:75], v[96:97], s[52:53], v[74:75]
	v_add_f64 v[28:29], v[46:47], v[28:29]
	v_fma_f64 v[46:47], v[114:115], s[18:19], v[80:81]
	v_add_f64 v[6:7], v[10:11], v[6:7]
	v_add_f64 v[10:11], v[8:9], v[4:5]
	;; [unrolled: 1-line block ×4, first 2 shown]
	v_add_f64 v[76:77], v[76:77], -v[142:143]
	v_add_f64 v[14:15], v[94:95], v[14:15]
	v_fma_f64 v[80:81], v[92:93], s[30:31], v[32:33]
	v_fma_f64 v[36:37], v[112:113], s[8:9], -v[226:227]
	v_fma_f64 v[248:249], v[92:93], s[54:55], v[128:129]
	v_fma_f64 v[118:119], v[112:113], s[24:25], v[212:213]
	v_add_f64 v[72:73], v[72:73], v[84:85]
	v_add_f64 v[16:17], v[108:109], v[20:21]
	v_fma_f64 v[20:21], v[92:93], s[50:51], v[234:235]
	v_add_f64 v[22:23], v[98:99], v[22:23]
	v_add_f64 v[98:99], v[110:111], v[12:13]
	;; [unrolled: 1-line block ×5, first 2 shown]
	v_add_f64 v[90:91], v[218:219], -v[168:169]
	v_fma_f64 v[84:85], v[112:113], s[22:23], -v[78:79]
	v_add_f64 v[94:95], v[26:27], v[18:19]
	v_fma_f64 v[128:129], v[92:93], s[28:29], v[128:129]
	v_fma_f64 v[212:213], v[112:113], s[24:25], -v[212:213]
	v_add_f64 v[48:49], v[120:121], v[48:49]
	v_add_f64 v[50:51], v[204:205], v[50:51]
	v_fma_f64 v[108:109], v[92:93], s[4:5], v[234:235]
	v_add_f64 v[82:83], v[180:181], v[82:83]
	v_fma_f64 v[110:111], v[112:113], s[8:9], v[226:227]
	;; [unrolled: 2-line block ×4, first 2 shown]
	v_add_f64 v[72:73], v[46:47], v[72:73]
	v_add_f64 v[88:89], v[88:89], v[16:17]
	;; [unrolled: 1-line block ×17, first 2 shown]
	v_mov_b32_e32 v1, 4
	v_add_f64 v[36:37], v[108:109], v[82:83]
	v_add_f64 v[34:35], v[110:111], v[38:39]
	;; [unrolled: 1-line block ×5, first 2 shown]
	s_waitcnt vmcnt(0)
	v_mul_lo_u16 v0, v220, 17
	v_lshlrev_b32_sdwa v0, v1, v0 dst_sel:DWORD dst_unused:UNUSED_PAD src0_sel:DWORD src1_sel:WORD_0
	ds_write_b128 v0, v[26:29]
	ds_write_b128 v0, v[22:25] offset:16
	ds_write_b128 v0, v[18:21] offset:32
	;; [unrolled: 1-line block ×16, first 2 shown]
.LBB0_7:
	s_or_b32 exec_lo, exec_lo, s33
	v_and_b32_e32 v0, 0xff, v220
	s_load_dwordx4 s[4:7], s[0:1], 0x0
	v_mov_b32_e32 v3, 0xf0f1
	s_waitcnt lgkmcnt(0)
	s_waitcnt_vscnt null, 0x0
	s_barrier
	v_mul_lo_u16 v2, 0xf1, v0
	v_add_co_u32 v0, s0, 0x66, v220
	v_add_co_ci_u32_e64 v1, null, 0, 0, s0
	v_lshrrev_b16 v35, 12, v2
	v_add_co_u32 v172, s0, 0xcc, v220
	v_and_b32_e32 v2, 0xff, v0
	buffer_gl0_inv
	v_mul_lo_u16 v4, v35, 17
	v_mul_u32_u24_sdwa v6, v172, v3 dst_sel:DWORD dst_unused:UNUSED_PAD src0_sel:WORD_0 src1_sel:DWORD
	v_add_co_u32 v5, null, 0x132, v220
	v_add_co_u32 v8, null, 0x198, v220
	v_sub_nc_u16 v4, v220, v4
	v_lshrrev_b32_e32 v43, 20, v6
	v_mul_lo_u16 v6, 0xf1, v2
	v_mul_u32_u24_sdwa v7, v5, v3 dst_sel:DWORD dst_unused:UNUSED_PAD src0_sel:WORD_0 src1_sel:DWORD
	v_mul_u32_u24_sdwa v3, v8, v3 dst_sel:DWORD dst_unused:UNUSED_PAD src0_sel:WORD_0 src1_sel:DWORD
	v_and_b32_e32 v112, 0xff, v4
	v_mov_b32_e32 v118, 4
	v_lshrrev_b16 v44, 12, v6
	v_lshrrev_b32_e32 v59, 20, v7
	v_mul_lo_u16 v7, v43, 17
	v_lshlrev_b32_e32 v6, 5, v112
	v_lshrrev_b32_e32 v113, 20, v3
	v_lshlrev_b32_sdwa v248, v118, v220 dst_sel:DWORD dst_unused:UNUSED_PAD src0_sel:DWORD src1_sel:WORD_0
	v_mul_lo_u16 v4, v59, 17
	v_sub_nc_u16 v45, v172, v7
	s_clause 0x1
	global_load_dwordx4 v[148:151], v6, s[2:3]
	global_load_dwordx4 v[152:155], v6, s[2:3] offset:16
	v_mul_lo_u16 v7, v44, 17
	v_sub_nc_u16 v114, v5, v4
	v_mul_lo_u16 v5, v113, 17
	v_lshlrev_b16 v3, 1, v45
	v_mov_b32_e32 v46, 51
	v_sub_nc_u16 v4, v0, v7
	v_lshlrev_b16 v7, 1, v114
	v_sub_nc_u16 v115, v8, v5
	v_lshlrev_b32_sdwa v3, v118, v3 dst_sel:DWORD dst_unused:UNUSED_PAD src0_sel:DWORD src1_sel:WORD_0
	s_clause 0x1
	global_load_dwordx4 v[120:123], v3, s[2:3] offset:16
	global_load_dwordx4 v[132:135], v3, s[2:3]
	v_and_b32_e32 v119, 0xff, v4
	v_lshlrev_b32_sdwa v4, v118, v7 dst_sel:DWORD dst_unused:UNUSED_PAD src0_sel:DWORD src1_sel:WORD_0
	v_lshlrev_b16 v5, 1, v115
	v_mul_u32_u24_sdwa v116, v35, v46 dst_sel:DWORD dst_unused:UNUSED_PAD src0_sel:WORD_0 src1_sel:DWORD
	v_mul_u32_u24_sdwa v128, v44, v46 dst_sel:DWORD dst_unused:UNUSED_PAD src0_sel:WORD_0 src1_sel:DWORD
	v_lshlrev_b32_e32 v3, 5, v119
	s_clause 0x2
	global_load_dwordx4 v[136:139], v4, s[2:3]
	global_load_dwordx4 v[124:127], v4, s[2:3] offset:16
	global_load_dwordx4 v[156:159], v3, s[2:3]
	v_lshlrev_b32_sdwa v4, v118, v5 dst_sel:DWORD dst_unused:UNUSED_PAD src0_sel:DWORD src1_sel:WORD_0
	s_clause 0x2
	global_load_dwordx4 v[160:163], v3, s[2:3] offset:16
	global_load_dwordx4 v[144:147], v4, s[2:3]
	global_load_dwordx4 v[140:143], v4, s[2:3] offset:16
	ds_read_b128 v[3:6], v248 offset:8160
	ds_read_b128 v[7:10], v248 offset:16320
	;; [unrolled: 1-line block ×6, first 2 shown]
	ds_read_b128 v[27:30], v248
	ds_read_b128 v[31:34], v248 offset:1632
	ds_read_b128 v[60:63], v248 offset:21216
	ds_read_b128 v[64:67], v248 offset:17952
	ds_read_b128 v[68:71], v248 offset:3264
	ds_read_b128 v[72:75], v248 offset:4896
	ds_read_b128 v[76:79], v248 offset:6528
	ds_read_b128 v[80:83], v248 offset:14688
	ds_read_b128 v[84:87], v248 offset:22848
	v_mad_u16 v129, v43, 51, v45
	v_mad_u16 v130, v59, 51, v114
	;; [unrolled: 1-line block ×3, first 2 shown]
	s_mov_b32 s8, 0xe8584caa
	s_mov_b32 s9, 0x3febb67a
	;; [unrolled: 1-line block ×4, first 2 shown]
	v_add_co_ci_u32_e64 v173, null, 0, 0, s0
	v_cmp_gt_u16_e64 s0, 51, v220
                                        ; implicit-def: $vgpr168_vgpr169
	s_waitcnt vmcnt(9) lgkmcnt(14)
	v_mul_f64 v[35:36], v[5:6], v[150:151]
	v_mul_f64 v[37:38], v[3:4], v[150:151]
	s_waitcnt vmcnt(8) lgkmcnt(13)
	v_mul_f64 v[39:40], v[9:10], v[154:155]
	v_mul_f64 v[41:42], v[7:8], v[154:155]
	s_waitcnt vmcnt(7) lgkmcnt(10)
	v_mul_f64 v[47:48], v[21:22], v[122:123]
	s_waitcnt vmcnt(6)
	v_mul_f64 v[43:44], v[17:18], v[134:135]
	v_mul_f64 v[45:46], v[15:16], v[134:135]
	;; [unrolled: 1-line block ×3, first 2 shown]
	s_waitcnt vmcnt(5) lgkmcnt(9)
	v_mul_f64 v[51:52], v[25:26], v[138:139]
	v_fma_f64 v[3:4], v[3:4], v[148:149], -v[35:36]
	buffer_store_dword v148, off, s[60:63], 0 offset:128 ; 4-byte Folded Spill
	buffer_store_dword v149, off, s[60:63], 0 offset:132 ; 4-byte Folded Spill
	;; [unrolled: 1-line block ×4, first 2 shown]
	s_waitcnt vmcnt(4) lgkmcnt(6)
	v_mul_f64 v[55:56], v[62:63], v[126:127]
	s_waitcnt vmcnt(3)
	v_mul_f64 v[57:58], v[13:14], v[158:159]
	s_waitcnt vmcnt(2) lgkmcnt(5)
	v_mul_f64 v[88:89], v[66:67], v[162:163]
	s_waitcnt vmcnt(1) lgkmcnt(1)
	;; [unrolled: 2-line block ×3, first 2 shown]
	v_mul_f64 v[108:109], v[86:87], v[142:143]
	v_mul_f64 v[53:54], v[23:24], v[138:139]
	v_mul_f64 v[90:91], v[11:12], v[158:159]
	v_mul_f64 v[92:93], v[64:65], v[162:163]
	v_mul_f64 v[94:95], v[60:61], v[126:127]
	v_mul_f64 v[98:99], v[80:81], v[146:147]
	v_mul_f64 v[110:111], v[84:85], v[142:143]
	v_fma_f64 v[7:8], v[7:8], v[152:153], -v[39:40]
	buffer_store_dword v152, off, s[60:63], 0 offset:144 ; 4-byte Folded Spill
	buffer_store_dword v153, off, s[60:63], 0 offset:148 ; 4-byte Folded Spill
	buffer_store_dword v154, off, s[60:63], 0 offset:152 ; 4-byte Folded Spill
	buffer_store_dword v155, off, s[60:63], 0 offset:156 ; 4-byte Folded Spill
	v_fma_f64 v[15:16], v[15:16], v[132:133], -v[43:44]
	buffer_store_dword v132, off, s[60:63], 0 offset:64 ; 4-byte Folded Spill
	buffer_store_dword v133, off, s[60:63], 0 offset:68 ; 4-byte Folded Spill
	buffer_store_dword v134, off, s[60:63], 0 offset:72 ; 4-byte Folded Spill
	buffer_store_dword v135, off, s[60:63], 0 offset:76 ; 4-byte Folded Spill
	;; [unrolled: 5-line block ×4, first 2 shown]
	v_add_f64 v[51:52], v[27:28], v[3:4]
	v_fma_f64 v[35:36], v[60:61], v[124:125], -v[55:56]
	v_fma_f64 v[11:12], v[11:12], v[156:157], -v[57:58]
	buffer_store_dword v156, off, s[60:63], 0 offset:160 ; 4-byte Folded Spill
	buffer_store_dword v157, off, s[60:63], 0 offset:164 ; 4-byte Folded Spill
	;; [unrolled: 1-line block ×4, first 2 shown]
	v_fma_f64 v[43:44], v[80:81], v[144:145], -v[96:97]
	v_fma_f64 v[47:48], v[84:85], v[140:141], -v[108:109]
	v_add_f64 v[59:60], v[3:4], -v[7:8]
	v_add_f64 v[80:81], v[15:16], -v[19:20]
	v_add_f64 v[84:85], v[23:24], v[35:36]
	v_fma_f64 v[5:6], v[5:6], v[148:149], v[37:38]
	v_fma_f64 v[37:38], v[64:65], v[160:161], -v[88:89]
	buffer_store_dword v160, off, s[60:63], 0 offset:176 ; 4-byte Folded Spill
	buffer_store_dword v161, off, s[60:63], 0 offset:180 ; 4-byte Folded Spill
	;; [unrolled: 1-line block ×16, first 2 shown]
	s_waitcnt_vscnt null, 0x0
	s_barrier
	buffer_gl0_inv
	v_fma_f64 v[9:10], v[9:10], v[152:153], v[41:42]
	v_fma_f64 v[17:18], v[17:18], v[132:133], v[45:46]
	v_add_lshl_u32 v132, v116, v112, 4
	v_fma_f64 v[21:22], v[21:22], v[120:121], v[49:50]
	v_add_f64 v[112:113], v[31:32], v[11:12]
	v_fma_f64 v[25:26], v[25:26], v[136:137], v[53:54]
	v_add_f64 v[53:54], v[3:4], v[7:8]
	v_add_f64 v[57:58], v[29:30], v[5:6]
	;; [unrolled: 1-line block ×3, first 2 shown]
	v_fma_f64 v[13:14], v[13:14], v[156:157], v[90:91]
	v_add_f64 v[116:117], v[11:12], -v[37:38]
	v_add_f64 v[55:56], v[5:6], -v[9:10]
	v_add_f64 v[5:6], v[5:6], v[9:10]
	v_add_f64 v[90:91], v[74:75], v[25:26]
	v_fma_f64 v[27:28], v[53:54], -0.5, v[27:28]
	v_add_f64 v[114:115], v[33:34], v[13:14]
	v_fma_f64 v[29:30], v[5:6], -0.5, v[29:30]
	;; [unrolled: 2-line block ×3, first 2 shown]
	v_fma_f64 v[39:40], v[66:67], v[160:161], v[92:93]
	v_fma_f64 v[41:42], v[62:63], v[124:125], v[94:95]
	;; [unrolled: 1-line block ×4, first 2 shown]
	v_add_f64 v[61:62], v[68:69], v[15:16]
	v_add_f64 v[63:64], v[17:18], -v[21:22]
	v_add_f64 v[65:66], v[70:71], v[17:18]
	v_add_f64 v[17:18], v[17:18], v[21:22]
	;; [unrolled: 1-line block ×5, first 2 shown]
	v_add_f64 v[92:93], v[23:24], -v[35:36]
	v_add_f64 v[23:24], v[76:77], v[43:44]
	v_add_f64 v[43:44], v[43:44], -v[47:48]
	v_fma_f64 v[67:68], v[3:4], -0.5, v[68:69]
	v_add_f64 v[3:4], v[51:52], v[7:8]
	v_add_f64 v[86:87], v[13:14], v[39:40]
	v_add_f64 v[88:89], v[25:26], -v[41:42]
	v_add_f64 v[25:26], v[25:26], v[41:42]
	v_add_f64 v[96:97], v[45:46], -v[49:50]
	v_add_f64 v[98:99], v[78:79], v[45:46]
	v_add_f64 v[45:46], v[45:46], v[49:50]
	v_add_f64 v[53:54], v[13:14], -v[39:40]
	v_fma_f64 v[51:52], v[17:18], -0.5, v[70:71]
	v_add_f64 v[11:12], v[15:16], v[35:36]
	v_fma_f64 v[69:70], v[82:83], -0.5, v[31:32]
	v_add_f64 v[13:14], v[90:91], v[41:42]
	;; [unrolled: 2-line block ×3, first 2 shown]
	v_add_f64 v[9:10], v[65:66], v[21:22]
	v_add_f64 v[108:109], v[23:24], v[47:48]
	v_fma_f64 v[19:20], v[55:56], s[8:9], v[27:28]
	v_fma_f64 v[23:24], v[55:56], s[10:11], v[27:28]
	;; [unrolled: 1-line block ×4, first 2 shown]
	v_add_f64 v[15:16], v[112:113], v[37:38]
	v_add_f64 v[17:18], v[114:115], v[39:40]
	v_fma_f64 v[21:22], v[59:60], s[10:11], v[29:30]
	v_fma_f64 v[33:34], v[86:87], -0.5, v[33:34]
	v_fma_f64 v[72:73], v[88:89], s[10:11], v[57:58]
	v_fma_f64 v[35:36], v[25:26], -0.5, v[74:75]
	v_fma_f64 v[25:26], v[59:60], s[8:9], v[29:30]
	v_add_f64 v[110:111], v[98:99], v[49:50]
	v_fma_f64 v[45:46], v[45:46], -0.5, v[78:79]
	v_lshlrev_b32_sdwa v37, v118, v129 dst_sel:DWORD dst_unused:UNUSED_PAD src0_sel:DWORD src1_sel:WORD_0
	v_fma_f64 v[29:30], v[80:81], s[10:11], v[51:52]
	v_add_lshl_u32 v38, v128, v119, 4
	v_fma_f64 v[64:65], v[53:54], s[10:11], v[69:70]
	v_fma_f64 v[60:61], v[53:54], s[8:9], v[69:70]
	;; [unrolled: 1-line block ×5, first 2 shown]
	ds_write_b128 v132, v[3:6]
	ds_write_b128 v132, v[19:22] offset:272
	buffer_store_dword v132, off, s[60:63], 0 offset:192 ; 4-byte Folded Spill
	v_fma_f64 v[62:63], v[116:117], s[10:11], v[33:34]
	v_fma_f64 v[66:67], v[116:117], s[8:9], v[33:34]
	;; [unrolled: 1-line block ×7, first 2 shown]
	v_lshlrev_b32_sdwa v36, v118, v130 dst_sel:DWORD dst_unused:UNUSED_PAD src0_sel:DWORD src1_sel:WORD_0
	v_lshlrev_b32_sdwa v35, v118, v131 dst_sel:DWORD dst_unused:UNUSED_PAD src0_sel:DWORD src1_sel:WORD_0
	ds_write_b128 v132, v[23:26] offset:544
	ds_write_b128 v38, v[15:18]
	ds_write_b128 v38, v[60:63] offset:272
	buffer_store_dword v38, off, s[60:63], 0 offset:304 ; 4-byte Folded Spill
	ds_write_b128 v38, v[64:67] offset:544
	ds_write_b128 v37, v[7:10]
	ds_write_b128 v37, v[27:30] offset:272
	buffer_store_dword v37, off, s[60:63], 0 offset:220 ; 4-byte Folded Spill
	ds_write_b128 v37, v[31:34] offset:544
	ds_write_b128 v36, v[11:14]
	ds_write_b128 v36, v[68:71] offset:272
	buffer_store_dword v36, off, s[60:63], 0 offset:200 ; 4-byte Folded Spill
	ds_write_b128 v36, v[72:75] offset:544
	ds_write_b128 v35, v[108:111]
	ds_write_b128 v35, v[120:123] offset:272
	buffer_store_dword v35, off, s[60:63], 0 offset:196 ; 4-byte Folded Spill
	ds_write_b128 v35, v[124:127] offset:544
	s_waitcnt lgkmcnt(0)
	s_waitcnt_vscnt null, 0x0
	s_barrier
	buffer_gl0_inv
	ds_read_b128 v[116:119], v248
	ds_read_b128 v[112:115], v248 offset:1632
	ds_read_b128 v[148:151], v248 offset:4080
	;; [unrolled: 1-line block ×11, first 2 shown]
	s_and_saveexec_b32 s1, s0
	s_cbranch_execz .LBB0_9
; %bb.8:
	ds_read_b128 v[108:111], v248 offset:3264
	ds_read_b128 v[120:123], v248 offset:7344
	;; [unrolled: 1-line block ×6, first 2 shown]
.LBB0_9:
	s_or_b32 exec_lo, exec_lo, s1
	v_mul_lo_u16 v2, 0xa1, v2
	v_mov_b32_e32 v3, 0xa0a1
	v_subrev_nc_u32_e32 v4, 51, v220
	v_lshrrev_b16 v26, 13, v2
	v_mul_u32_u24_sdwa v2, v172, v3 dst_sel:DWORD dst_unused:UNUSED_PAD src0_sel:WORD_0 src1_sel:DWORD
	v_cndmask_b32_e64 v27, v4, v220, s0
	v_mul_lo_u16 v3, v26, 51
	v_lshrrev_b32_e32 v2, 21, v2
	v_mul_i32_i24_e32 v4, 0x50, v27
	v_mul_hi_i32_i24_e32 v5, 0x50, v27
	v_sub_nc_u16 v6, v0, v3
	v_mul_lo_u16 v7, v2, 51
	v_add_co_u32 v2, s1, s2, v4
	v_add_co_ci_u32_e64 v3, s1, s3, v5, s1
	v_and_b32_e32 v28, 0xff, v6
	v_sub_nc_u16 v6, v172, v7
	s_clause 0x1
	global_load_dwordx4 v[186:189], v[2:3], off offset:560
	global_load_dwordx4 v[182:185], v[2:3], off offset:544
	v_mad_u64_u32 v[4:5], null, 0x50, v28, s[2:3]
	buffer_store_dword v6, off, s[60:63], 0 offset:28 ; 4-byte Folded Spill
	v_mul_lo_u16 v6, 0x50, v6
	s_clause 0x5
	global_load_dwordx4 v[92:95], v[2:3], off offset:576
	global_load_dwordx4 v[194:197], v[2:3], off offset:592
	;; [unrolled: 1-line block ×6, first 2 shown]
	v_and_b32_e32 v6, 0xffff, v6
	v_add_co_u32 v2, s1, s2, v6
	v_add_co_ci_u32_e64 v3, null, s3, 0, s1
	s_clause 0x6
	global_load_dwordx4 v[198:201], v[4:5], off offset:592
	global_load_dwordx4 v[88:91], v[4:5], off offset:608
	;; [unrolled: 1-line block ×7, first 2 shown]
	v_cmp_lt_u16_e64 s1, 50, v220
	v_cndmask_b32_e64 v75, 0, 0x132, s1
	v_add_lshl_u32 v27, v27, v75, 4
	s_waitcnt vmcnt(14) lgkmcnt(7)
	v_mul_f64 v[6:7], v[154:155], v[188:189]
	s_waitcnt vmcnt(13)
	v_mul_f64 v[2:3], v[150:151], v[184:185]
	v_mul_f64 v[4:5], v[148:149], v[184:185]
	;; [unrolled: 1-line block ×3, first 2 shown]
	s_waitcnt vmcnt(12) lgkmcnt(5)
	v_mul_f64 v[10:11], v[158:159], v[94:95]
	s_waitcnt vmcnt(11) lgkmcnt(3)
	v_mul_f64 v[14:15], v[162:163], v[196:197]
	s_waitcnt vmcnt(9)
	v_mul_f64 v[22:23], v[130:131], v[180:181]
	v_mul_f64 v[16:17], v[160:161], v[196:197]
	s_waitcnt vmcnt(7)
	v_mul_f64 v[29:30], v[134:135], v[192:193]
	v_mul_f64 v[24:25], v[128:129], v[180:181]
	;; [unrolled: 1-line block ×4, first 2 shown]
	s_waitcnt lgkmcnt(1)
	v_mul_f64 v[18:19], v[166:167], v[98:99]
	s_waitcnt vmcnt(6)
	v_mul_f64 v[37:38], v[142:143], v[200:201]
	v_mul_f64 v[39:40], v[140:141], v[200:201]
	s_waitcnt vmcnt(4)
	v_mul_f64 v[45:46], v[122:123], v[78:79]
	s_waitcnt vmcnt(3)
	;; [unrolled: 2-line block ×4, first 2 shown]
	v_mul_f64 v[57:58], v[106:107], v[71:72]
	s_waitcnt vmcnt(0) lgkmcnt(0)
	v_mul_f64 v[61:62], v[170:171], v[176:177]
	v_mul_f64 v[47:48], v[120:121], v[78:79]
	;; [unrolled: 1-line block ×6, first 2 shown]
	v_fma_f64 v[2:3], v[148:149], v[182:183], -v[2:3]
	buffer_store_dword v182, off, s[60:63], 0 offset:224 ; 4-byte Folded Spill
	buffer_store_dword v183, off, s[60:63], 0 offset:228 ; 4-byte Folded Spill
	buffer_store_dword v184, off, s[60:63], 0 offset:232 ; 4-byte Folded Spill
	buffer_store_dword v185, off, s[60:63], 0 offset:236 ; 4-byte Folded Spill
	v_fma_f64 v[6:7], v[152:153], v[186:187], -v[6:7]
	buffer_store_dword v186, off, s[60:63], 0 offset:240 ; 4-byte Folded Spill
	buffer_store_dword v187, off, s[60:63], 0 offset:244 ; 4-byte Folded Spill
	buffer_store_dword v188, off, s[60:63], 0 offset:248 ; 4-byte Folded Spill
	buffer_store_dword v189, off, s[60:63], 0 offset:252 ; 4-byte Folded Spill
	;; [unrolled: 5-line block ×11, first 2 shown]
	v_mul_f64 v[20:21], v[164:165], v[98:99]
	v_mul_f64 v[33:34], v[138:139], v[86:87]
	;; [unrolled: 1-line block ×5, first 2 shown]
	v_fma_f64 v[10:11], v[156:157], v[92:93], -v[10:11]
	v_fma_f64 v[12:13], v[158:159], v[92:93], v[12:13]
	v_fma_f64 v[18:19], v[164:165], v[96:97], -v[18:19]
	v_add_f64 v[67:68], v[6:7], v[14:15]
	v_add_f64 v[73:74], v[6:7], -v[14:15]
	v_add_f64 v[120:121], v[29:30], v[37:38]
	v_add_f64 v[140:141], v[49:50], v[57:58]
	v_fma_f64 v[20:21], v[166:167], v[96:97], v[20:21]
	v_fma_f64 v[33:34], v[136:137], v[84:85], -v[33:34]
	v_fma_f64 v[35:36], v[138:139], v[84:85], v[35:36]
	v_fma_f64 v[41:42], v[144:145], v[88:89], -v[41:42]
	v_fma_f64 v[43:44], v[146:147], v[88:89], v[43:44]
	v_add_f64 v[136:137], v[53:54], v[61:62]
	v_add_f64 v[138:139], v[108:109], v[49:50]
	;; [unrolled: 1-line block ×3, first 2 shown]
	v_add_f64 v[49:50], v[49:50], -v[57:58]
	v_add_f64 v[104:105], v[12:13], -v[20:21]
	v_add_f64 v[128:129], v[33:34], v[41:42]
	v_add_f64 v[132:133], v[35:36], -v[43:44]
	v_fma_f64 v[4:5], v[150:151], v[182:183], v[4:5]
	v_fma_f64 v[8:9], v[154:155], v[186:187], v[8:9]
	;; [unrolled: 1-line block ×4, first 2 shown]
	v_add_f64 v[130:131], v[29:30], -v[37:38]
	v_fma_f64 v[31:32], v[134:135], v[190:191], v[31:32]
	v_fma_f64 v[39:40], v[142:143], v[198:199], v[39:40]
	v_fma_f64 v[47:48], v[122:123], v[76:77], v[47:48]
	v_fma_f64 v[51:52], v[126:127], v[65:66], v[51:52]
	v_add_f64 v[126:127], v[35:36], v[43:44]
	v_fma_f64 v[55:56], v[102:103], v[80:81], v[55:56]
	v_add_f64 v[102:103], v[12:13], v[20:21]
	v_fma_f64 v[59:60], v[106:107], v[69:70], v[59:60]
	;; [unrolled: 2-line block ×3, first 2 shown]
	v_add_f64 v[6:7], v[2:3], v[10:11]
	v_add_f64 v[12:13], v[4:5], v[12:13]
	v_add_f64 v[10:11], v[10:11], -v[18:19]
	v_add_f64 v[71:72], v[118:119], v[8:9]
	v_add_f64 v[106:107], v[112:113], v[29:30]
	v_add_f64 v[69:70], v[8:9], -v[16:17]
	v_add_f64 v[8:9], v[8:9], v[16:17]
	v_add_f64 v[29:30], v[22:23], v[33:34]
	;; [unrolled: 1-line block ×4, first 2 shown]
	v_add_f64 v[33:34], v[33:34], -v[41:42]
	v_add_f64 v[122:123], v[31:32], -v[39:40]
	v_add_f64 v[31:32], v[31:32], v[39:40]
	v_fma_f64 v[2:3], v[100:101], -0.5, v[2:3]
	v_add_f64 v[100:101], v[45:46], v[53:54]
	v_add_f64 v[144:145], v[110:111], v[51:52]
	v_add_f64 v[53:54], v[53:54], -v[61:62]
	v_fma_f64 v[24:25], v[126:127], -0.5, v[24:25]
	v_fma_f64 v[4:5], v[102:103], -0.5, v[4:5]
	v_add_f64 v[142:143], v[51:52], -v[59:60]
	v_add_f64 v[51:52], v[51:52], v[59:60]
	v_add_f64 v[134:135], v[55:56], v[63:64]
	v_add_f64 v[102:103], v[55:56], -v[63:64]
	v_add_f64 v[55:56], v[47:48], v[55:56]
	v_fma_f64 v[22:23], v[128:129], -0.5, v[22:23]
	v_add_f64 v[12:13], v[12:13], v[20:21]
	v_fma_f64 v[45:46], v[136:137], -0.5, v[45:46]
	;; [unrolled: 2-line block ×4, first 2 shown]
	v_add_f64 v[37:38], v[106:107], v[37:38]
	v_add_f64 v[18:19], v[6:7], v[18:19]
	;; [unrolled: 1-line block ×3, first 2 shown]
	v_fma_f64 v[71:72], v[31:32], -0.5, v[114:115]
	v_add_f64 v[41:42], v[29:30], v[41:42]
	v_add_f64 v[35:36], v[35:36], v[43:44]
	v_fma_f64 v[43:44], v[140:141], -0.5, v[108:109]
	v_add_f64 v[6:7], v[144:145], v[59:60]
	v_fma_f64 v[106:107], v[10:11], s[10:11], v[4:5]
	v_fma_f64 v[10:11], v[10:11], s[8:9], v[4:5]
	v_add_f64 v[4:5], v[100:101], v[61:62]
	v_fma_f64 v[20:21], v[134:135], -0.5, v[47:48]
	v_fma_f64 v[47:48], v[120:121], -0.5, v[112:113]
	v_fma_f64 v[112:113], v[104:105], s[10:11], v[2:3]
	v_fma_f64 v[104:105], v[104:105], s[8:9], v[2:3]
	v_add_f64 v[2:3], v[138:139], v[57:58]
	v_fma_f64 v[57:58], v[33:34], s[10:11], v[24:25]
	v_fma_f64 v[114:115], v[132:133], s[10:11], v[22:23]
	v_fma_f64 v[24:25], v[33:34], s[8:9], v[24:25]
	v_fma_f64 v[33:34], v[51:52], -0.5, v[110:111]
	v_add_f64 v[8:9], v[55:56], v[63:64]
	v_fma_f64 v[55:56], v[102:103], s[10:11], v[45:46]
	v_fma_f64 v[45:46], v[102:103], s[8:9], v[45:46]
	;; [unrolled: 1-line block ×7, first 2 shown]
	v_add_f64 v[31:32], v[16:17], v[12:13]
	v_add_f64 v[102:103], v[16:17], -v[12:13]
	v_add_f64 v[29:30], v[14:15], v[18:19]
	v_mul_f64 v[69:70], v[10:11], -0.5
	v_add_f64 v[100:101], v[14:15], -v[18:19]
	v_fma_f64 v[51:52], v[53:54], s[10:11], v[20:21]
	v_fma_f64 v[53:54], v[53:54], s[8:9], v[20:21]
	v_mul_f64 v[20:21], v[106:107], s[8:9]
	v_mul_f64 v[65:66], v[104:105], s[10:11]
	v_mul_f64 v[63:64], v[112:113], -0.5
	v_mul_f64 v[73:74], v[57:58], s[8:9]
	v_mul_f64 v[116:117], v[114:115], -0.5
	v_mul_f64 v[120:121], v[24:25], -0.5
	v_fma_f64 v[136:137], v[122:123], s[8:9], v[47:48]
	v_fma_f64 v[47:48], v[122:123], s[10:11], v[47:48]
	v_mul_f64 v[16:17], v[55:56], -0.5
	v_mul_f64 v[122:123], v[45:46], s[10:11]
	v_mul_f64 v[118:119], v[22:23], s[10:11]
	v_add_f64 v[108:109], v[37:38], -v[41:42]
	v_add_f64 v[110:111], v[39:40], -v[35:36]
	v_fma_f64 v[12:13], v[142:143], s[10:11], v[43:44]
	v_fma_f64 v[138:139], v[130:131], s[10:11], v[71:72]
	;; [unrolled: 1-line block ×4, first 2 shown]
	v_add_f64 v[156:157], v[2:3], -v[4:5]
	v_fma_f64 v[69:70], v[112:113], s[10:11], v[69:70]
	v_add_f64 v[158:159], v[6:7], -v[8:9]
	v_mul_f64 v[14:15], v[51:52], s[8:9]
	v_mul_f64 v[124:125], v[53:54], -0.5
	v_fma_f64 v[128:129], v[104:105], 0.5, v[20:21]
	v_fma_f64 v[65:66], v[106:107], 0.5, v[65:66]
	v_add_f64 v[104:105], v[37:38], v[41:42]
	v_add_f64 v[106:107], v[39:40], v[35:36]
	v_fma_f64 v[35:36], v[22:23], 0.5, v[73:74]
	v_fma_f64 v[37:38], v[24:25], s[8:9], v[116:117]
	v_fma_f64 v[20:21], v[49:50], s[8:9], v[33:34]
	v_fma_f64 v[63:64], v[10:11], s[8:9], v[63:64]
	v_fma_f64 v[16:17], v[53:54], s[8:9], v[16:17]
	v_fma_f64 v[41:42], v[114:115], s[10:11], v[120:121]
	v_fma_f64 v[10:11], v[142:143], s[8:9], v[43:44]
	v_fma_f64 v[22:23], v[51:52], 0.5, v[122:123]
	v_fma_f64 v[39:40], v[57:58], 0.5, v[118:119]
	v_add_f64 v[118:119], v[67:68], v[69:70]
	v_fma_f64 v[14:15], v[45:46], 0.5, v[14:15]
	v_fma_f64 v[24:25], v[55:56], s[10:11], v[124:125]
	v_add_f64 v[112:113], v[59:60], v[128:129]
	v_add_f64 v[120:121], v[59:60], -v[128:129]
	v_add_f64 v[114:115], v[126:127], v[65:66]
	v_add_f64 v[122:123], v[126:127], -v[65:66]
	;; [unrolled: 2-line block ×3, first 2 shown]
	v_add_f64 v[126:127], v[67:68], -v[69:70]
	v_add_f64 v[116:117], v[61:62], v[63:64]
	v_add_f64 v[33:34], v[12:13], -v[16:17]
	v_add_f64 v[124:125], v[61:62], -v[63:64]
	;; [unrolled: 1-line block ×5, first 2 shown]
	v_add_f64 v[130:131], v[138:139], v[39:40]
	v_add_f64 v[132:133], v[47:48], v[37:38]
	;; [unrolled: 1-line block ×3, first 2 shown]
	v_add_f64 v[138:139], v[138:139], -v[39:40]
	v_add_f64 v[152:153], v[10:11], -v[14:15]
	;; [unrolled: 1-line block ×3, first 2 shown]
	buffer_store_dword v33, off, s[60:63], 0 offset:12 ; 4-byte Folded Spill
	buffer_store_dword v34, off, s[60:63], 0 offset:16 ; 4-byte Folded Spill
	;; [unrolled: 1-line block ×4, first 2 shown]
	v_mov_b32_e32 v33, 0x132
	s_waitcnt_vscnt null, 0x0
	s_barrier
	buffer_gl0_inv
	ds_write_b128 v27, v[29:32]
	ds_write_b128 v27, v[112:115] offset:816
	v_mul_u32_u24_sdwa v26, v26, v33 dst_sel:DWORD dst_unused:UNUSED_PAD src0_sel:WORD_0 src1_sel:DWORD
	ds_write_b128 v27, v[116:119] offset:1632
	ds_write_b128 v27, v[100:103] offset:2448
	;; [unrolled: 1-line block ×3, first 2 shown]
	buffer_store_dword v27, off, s[60:63], 0 offset:312 ; 4-byte Folded Spill
	v_add_lshl_u32 v26, v26, v28, 4
	ds_write_b128 v27, v[124:127] offset:4080
	ds_write_b128 v26, v[104:107]
	ds_write_b128 v26, v[128:131] offset:816
	ds_write_b128 v26, v[132:135] offset:1632
	;; [unrolled: 1-line block ×4, first 2 shown]
	buffer_store_dword v26, off, s[60:63], 0 offset:308 ; 4-byte Folded Spill
	ds_write_b128 v26, v[140:143] offset:4080
	s_and_saveexec_b32 s1, s0
	s_cbranch_execz .LBB0_11
; %bb.10:
	v_add_f64 v[4:5], v[2:3], v[4:5]
	buffer_load_dword v3, off, s[60:63], 0 offset:28 ; 4-byte Folded Reload
	v_add_f64 v[6:7], v[6:7], v[8:9]
	v_add_f64 v[20:21], v[20:21], v[24:25]
	;; [unrolled: 1-line block ×5, first 2 shown]
	v_mov_b32_e32 v2, 4
	s_waitcnt vmcnt(0)
	v_lshlrev_b32_sdwa v2, v2, v3 dst_sel:DWORD dst_unused:UNUSED_PAD src0_sel:DWORD src1_sel:WORD_0
	ds_write_b128 v2, v[156:159] offset:22032
	ds_write_b128 v2, v[152:155] offset:22848
	;; [unrolled: 1-line block ×5, first 2 shown]
	s_clause 0x3
	buffer_load_dword v3, off, s[60:63], 0 offset:12
	buffer_load_dword v4, off, s[60:63], 0 offset:16
	;; [unrolled: 1-line block ×4, first 2 shown]
	s_waitcnt vmcnt(0)
	ds_write_b128 v2, v[3:6] offset:23664
.LBB0_11:
	s_or_b32 exec_lo, exec_lo, s1
	v_lshlrev_b32_e32 v2, 6, v220
	v_lshlrev_b64 v[0:1], 6, v[0:1]
	s_waitcnt lgkmcnt(0)
	s_waitcnt_vscnt null, 0x0
	s_barrier
	buffer_gl0_inv
	v_add_co_u32 v4, s1, s2, v2
	v_add_co_ci_u32_e64 v5, null, s3, 0, s1
	s_mov_b32 s11, 0xbfee6f0e
	v_add_co_u32 v2, s1, 0x1000, v4
	v_add_co_ci_u32_e64 v3, s1, 0, v5, s1
	v_add_co_u32 v4, s1, 0x1210, v4
	v_add_co_ci_u32_e64 v5, s1, 0, v5, s1
	global_load_dwordx4 v[100:103], v[2:3], off offset:528
	v_add_co_u32 v2, s1, s2, v0
	v_add_co_ci_u32_e64 v3, s1, s3, v1, s1
	s_clause 0x2
	global_load_dwordx4 v[112:115], v[4:5], off offset:16
	global_load_dwordx4 v[108:111], v[4:5], off offset:32
	;; [unrolled: 1-line block ×3, first 2 shown]
	v_add_co_u32 v0, s1, 0x1000, v2
	v_lshlrev_b64 v[4:5], 6, v[172:173]
	v_add_co_ci_u32_e64 v1, s1, 0, v3, s1
	v_add_co_u32 v2, s1, 0x1210, v2
	v_add_co_ci_u32_e64 v3, s1, 0, v3, s1
	v_add_co_u32 v4, s1, s2, v4
	v_add_co_ci_u32_e64 v5, s1, s3, v5, s1
	s_clause 0x2
	global_load_dwordx4 v[128:131], v[0:1], off offset:528
	global_load_dwordx4 v[124:127], v[2:3], off offset:16
	;; [unrolled: 1-line block ×3, first 2 shown]
	v_add_co_u32 v0, s1, 0x1000, v4
	v_add_co_ci_u32_e64 v1, s1, 0, v5, s1
	global_load_dwordx4 v[132:135], v[2:3], off offset:48
	v_add_co_u32 v2, s1, 0x1210, v4
	v_add_co_ci_u32_e64 v3, s1, 0, v5, s1
	s_clause 0x3
	global_load_dwordx4 v[144:147], v[0:1], off offset:528
	global_load_dwordx4 v[140:143], v[2:3], off offset:16
	;; [unrolled: 1-line block ×4, first 2 shown]
	ds_read_b128 v[180:183], v248 offset:4896
	ds_read_b128 v[176:179], v248 offset:9792
	;; [unrolled: 1-line block ×13, first 2 shown]
	s_mov_b32 s2, 0x134454ff
	s_mov_b32 s3, 0x3fee6f0e
	;; [unrolled: 1-line block ×9, first 2 shown]
	s_waitcnt vmcnt(11) lgkmcnt(12)
	v_mul_f64 v[28:29], v[182:183], v[102:103]
	v_mul_f64 v[30:31], v[180:181], v[102:103]
	s_waitcnt vmcnt(10) lgkmcnt(11)
	v_mul_f64 v[32:33], v[178:179], v[114:115]
	s_waitcnt vmcnt(9) lgkmcnt(10)
	;; [unrolled: 2-line block ×3, first 2 shown]
	v_mul_f64 v[40:41], v[170:171], v[106:107]
	v_mul_f64 v[42:43], v[168:169], v[106:107]
	;; [unrolled: 1-line block ×4, first 2 shown]
	s_waitcnt vmcnt(7) lgkmcnt(8)
	v_mul_f64 v[44:45], v[166:167], v[130:131]
	s_waitcnt vmcnt(6) lgkmcnt(7)
	v_mul_f64 v[48:49], v[162:163], v[126:127]
	;; [unrolled: 2-line block ×3, first 2 shown]
	v_mul_f64 v[54:55], v[4:5], v[122:123]
	v_fma_f64 v[28:29], v[180:181], v[100:101], -v[28:29]
	v_fma_f64 v[30:31], v[182:183], v[100:101], v[30:31]
	v_mul_f64 v[46:47], v[164:165], v[130:131]
	s_waitcnt vmcnt(4) lgkmcnt(4)
	v_mul_f64 v[56:57], v[10:11], v[134:135]
	v_fma_f64 v[32:33], v[176:177], v[112:113], -v[32:33]
	v_fma_f64 v[36:37], v[172:173], v[108:109], -v[36:37]
	;; [unrolled: 1-line block ×3, first 2 shown]
	s_waitcnt vmcnt(3) lgkmcnt(2)
	v_mul_f64 v[60:61], v[18:19], v[146:147]
	v_fma_f64 v[42:43], v[170:171], v[104:105], v[42:43]
	s_waitcnt vmcnt(2)
	v_mul_f64 v[64:65], v[14:15], v[142:143]
	v_mul_f64 v[66:67], v[12:13], v[142:143]
	s_waitcnt vmcnt(1) lgkmcnt(1)
	v_mul_f64 v[68:69], v[22:23], v[150:151]
	v_mul_f64 v[70:71], v[20:21], v[150:151]
	v_fma_f64 v[34:35], v[178:179], v[112:113], v[34:35]
	v_fma_f64 v[38:39], v[174:175], v[108:109], v[38:39]
	v_mul_f64 v[58:59], v[8:9], v[134:135]
	v_mul_f64 v[62:63], v[16:17], v[146:147]
	s_waitcnt vmcnt(0) lgkmcnt(0)
	v_mul_f64 v[72:73], v[26:27], v[138:139]
	v_mul_f64 v[74:75], v[24:25], v[138:139]
	;; [unrolled: 1-line block ×3, first 2 shown]
	v_fma_f64 v[52:53], v[4:5], v[120:121], -v[52:53]
	v_fma_f64 v[54:55], v[6:7], v[120:121], v[54:55]
	ds_read_b128 v[4:7], v248
	v_fma_f64 v[48:49], v[160:161], v[124:125], -v[48:49]
	v_fma_f64 v[44:45], v[164:165], v[128:129], -v[44:45]
	;; [unrolled: 1-line block ×3, first 2 shown]
	v_fma_f64 v[46:47], v[166:167], v[128:129], v[46:47]
	v_fma_f64 v[16:17], v[16:17], v[144:145], -v[60:61]
	v_add_f64 v[60:61], v[32:33], v[36:37]
	v_fma_f64 v[12:13], v[12:13], v[140:141], -v[64:65]
	v_fma_f64 v[14:15], v[14:15], v[140:141], v[66:67]
	v_fma_f64 v[20:21], v[20:21], v[148:149], -v[68:69]
	v_add_f64 v[64:65], v[28:29], v[40:41]
	v_add_f64 v[66:67], v[30:31], v[42:43]
	v_fma_f64 v[22:23], v[22:23], v[148:149], v[70:71]
	v_add_f64 v[68:69], v[28:29], -v[32:33]
	v_add_f64 v[70:71], v[40:41], -v[36:37]
	v_fma_f64 v[58:59], v[10:11], v[132:133], v[58:59]
	ds_read_b128 v[8:11], v248 offset:1632
	v_fma_f64 v[18:19], v[18:19], v[144:145], v[62:63]
	v_add_f64 v[62:63], v[34:35], v[38:39]
	v_fma_f64 v[24:25], v[24:25], v[136:137], -v[72:73]
	s_waitcnt lgkmcnt(1)
	v_add_f64 v[72:73], v[4:5], v[28:29]
	v_fma_f64 v[26:27], v[26:27], v[136:137], v[74:75]
	v_add_f64 v[74:75], v[36:37], -v[40:41]
	v_add_f64 v[116:117], v[38:39], -v[42:43]
	v_fma_f64 v[50:51], v[162:163], v[124:125], v[50:51]
	v_fma_f64 v[60:61], v[60:61], -0.5, v[4:5]
	v_fma_f64 v[4:5], v[64:65], -0.5, v[4:5]
	v_fma_f64 v[64:65], v[66:67], -0.5, v[6:7]
	v_add_f64 v[66:67], v[30:31], -v[34:35]
	v_add_f64 v[68:69], v[68:69], v[70:71]
	v_add_f64 v[70:71], v[42:43], -v[38:39]
	v_fma_f64 v[62:63], v[62:63], -0.5, v[6:7]
	v_add_f64 v[6:7], v[6:7], v[30:31]
	v_add_f64 v[72:73], v[72:73], v[32:33]
	;; [unrolled: 1-line block ×3, first 2 shown]
	v_add_f64 v[70:71], v[32:33], -v[28:29]
	v_add_f64 v[32:33], v[32:33], -v[36:37]
	;; [unrolled: 1-line block ×3, first 2 shown]
	v_add_f64 v[6:7], v[6:7], v[34:35]
	v_add_f64 v[36:37], v[72:73], v[36:37]
	;; [unrolled: 1-line block ×3, first 2 shown]
	v_add_f64 v[74:75], v[34:35], -v[30:31]
	v_add_f64 v[30:31], v[30:31], -v[42:43]
	;; [unrolled: 1-line block ×3, first 2 shown]
	v_add_f64 v[6:7], v[6:7], v[38:39]
	v_add_f64 v[160:161], v[36:37], v[40:41]
	v_add_f64 v[36:37], v[56:57], -v[52:53]
	v_add_f64 v[40:41], v[48:49], -v[52:53]
	v_add_f64 v[74:75], v[74:75], v[116:117]
	v_fma_f64 v[38:39], v[30:31], s[2:3], v[60:61]
	v_fma_f64 v[60:61], v[30:31], s[10:11], v[60:61]
	;; [unrolled: 1-line block ×6, first 2 shown]
	v_add_f64 v[162:163], v[6:7], v[42:43]
	v_add_f64 v[6:7], v[44:45], -v[48:49]
	v_fma_f64 v[38:39], v[34:35], s[8:9], v[38:39]
	v_fma_f64 v[34:35], v[34:35], s[16:17], v[60:61]
	;; [unrolled: 1-line block ×5, first 2 shown]
	v_add_f64 v[6:7], v[6:7], v[36:37]
	v_add_f64 v[36:37], v[50:51], -v[54:55]
	v_fma_f64 v[208:209], v[68:69], s[18:19], v[38:39]
	v_fma_f64 v[188:189], v[68:69], s[18:19], v[34:35]
	;; [unrolled: 1-line block ×7, first 2 shown]
	v_add_f64 v[64:65], v[48:49], v[52:53]
	v_fma_f64 v[216:217], v[70:71], s[18:19], v[4:5]
	v_add_f64 v[4:5], v[46:47], -v[58:59]
	v_add_f64 v[34:35], v[50:51], v[54:55]
	v_add_f64 v[38:39], v[44:45], -v[56:57]
	v_fma_f64 v[210:211], v[66:67], s[18:19], v[60:61]
	v_fma_f64 v[190:191], v[66:67], s[18:19], v[32:33]
	v_add_f64 v[32:33], v[46:47], -v[50:51]
	v_fma_f64 v[214:215], v[74:75], s[18:19], v[30:31]
	v_add_f64 v[30:31], v[58:59], -v[54:55]
	v_fma_f64 v[218:219], v[74:75], s[18:19], v[28:29]
	s_waitcnt lgkmcnt(0)
	v_fma_f64 v[28:29], v[64:65], -0.5, v[8:9]
	v_fma_f64 v[212:213], v[70:71], s[18:19], v[62:63]
	v_fma_f64 v[34:35], v[34:35], -0.5, v[10:11]
	v_add_f64 v[30:31], v[32:33], v[30:31]
	v_fma_f64 v[32:33], v[4:5], s[2:3], v[28:29]
	v_fma_f64 v[28:29], v[4:5], s[10:11], v[28:29]
	;; [unrolled: 1-line block ×9, first 2 shown]
	v_add_f64 v[6:7], v[44:45], v[56:57]
	v_add_f64 v[28:29], v[46:47], v[58:59]
	v_fma_f64 v[194:195], v[30:31], s[18:19], v[42:43]
	v_add_f64 v[34:35], v[16:17], v[24:25]
	v_add_f64 v[42:43], v[18:19], v[26:27]
	v_fma_f64 v[32:33], v[40:41], s[8:9], v[32:33]
	v_fma_f64 v[6:7], v[6:7], -0.5, v[8:9]
	v_fma_f64 v[28:29], v[28:29], -0.5, v[10:11]
	v_add_f64 v[8:9], v[8:9], v[44:45]
	v_add_f64 v[10:11], v[10:11], v[46:47]
	v_fma_f64 v[34:35], v[34:35], -0.5, v[0:1]
	v_fma_f64 v[42:43], v[42:43], -0.5, v[2:3]
	v_fma_f64 v[186:187], v[30:31], s[18:19], v[32:33]
	v_add_f64 v[30:31], v[48:49], -v[44:45]
	v_add_f64 v[32:33], v[50:51], -v[46:47]
	v_add_f64 v[44:45], v[12:13], v[20:21]
	v_add_f64 v[46:47], v[14:15], v[22:23]
	;; [unrolled: 1-line block ×4, first 2 shown]
	v_add_f64 v[48:49], v[52:53], -v[56:57]
	v_add_f64 v[50:51], v[14:15], -v[22:23]
	v_fma_f64 v[44:45], v[44:45], -0.5, v[0:1]
	v_fma_f64 v[46:47], v[46:47], -0.5, v[2:3]
	v_add_f64 v[0:1], v[0:1], v[16:17]
	v_add_f64 v[2:3], v[2:3], v[18:19]
	;; [unrolled: 1-line block ×4, first 2 shown]
	v_add_f64 v[52:53], v[22:23], -v[26:27]
	v_add_f64 v[0:1], v[0:1], v[12:13]
	v_add_f64 v[2:3], v[2:3], v[14:15]
	;; [unrolled: 1-line block ×3, first 2 shown]
	v_fma_f64 v[10:11], v[36:37], s[10:11], v[6:7]
	v_fma_f64 v[6:7], v[36:37], s[2:3], v[6:7]
	;; [unrolled: 1-line block ×4, first 2 shown]
	v_add_f64 v[40:41], v[14:15], -v[18:19]
	v_add_f64 v[14:15], v[18:19], -v[14:15]
	;; [unrolled: 1-line block ×3, first 2 shown]
	v_add_f64 v[204:205], v[8:9], v[56:57]
	v_add_f64 v[8:9], v[54:55], -v[58:59]
	v_add_f64 v[0:1], v[0:1], v[20:21]
	v_add_f64 v[2:3], v[2:3], v[22:23]
	v_add_f64 v[22:23], v[26:27], -v[22:23]
	v_fma_f64 v[10:11], v[4:5], s[8:9], v[10:11]
	v_fma_f64 v[4:5], v[4:5], s[16:17], v[6:7]
	;; [unrolled: 1-line block ×3, first 2 shown]
	v_add_f64 v[8:9], v[32:33], v[8:9]
	v_fma_f64 v[32:33], v[18:19], s[10:11], v[44:45]
	v_add_f64 v[200:201], v[0:1], v[24:25]
	v_add_f64 v[202:203], v[2:3], v[26:27]
	v_add_f64 v[0:1], v[12:13], -v[16:17]
	v_add_f64 v[2:3], v[12:13], -v[20:21]
	;; [unrolled: 1-line block ×6, first 2 shown]
	v_add_f64 v[14:15], v[14:15], v[22:23]
	v_fma_f64 v[22:23], v[50:51], s[10:11], v[34:35]
	v_add_f64 v[24:25], v[30:31], v[48:49]
	v_fma_f64 v[30:31], v[18:19], s[2:3], v[44:45]
	v_fma_f64 v[32:33], v[50:51], s[16:17], v[32:33]
	;; [unrolled: 1-line block ×3, first 2 shown]
	v_add_f64 v[0:1], v[0:1], v[26:27]
	v_add_f64 v[12:13], v[12:13], v[20:21]
	v_fma_f64 v[20:21], v[38:39], s[8:9], v[28:29]
	v_fma_f64 v[28:29], v[50:51], s[2:3], v[34:35]
	;; [unrolled: 1-line block ×6, first 2 shown]
	v_add_f64 v[26:27], v[40:41], v[52:53]
	v_fma_f64 v[30:31], v[50:51], s[8:9], v[30:31]
	v_fma_f64 v[224:225], v[24:25], s[18:19], v[10:11]
	;; [unrolled: 1-line block ×18, first 2 shown]
	ds_write_b128 v248, v[160:163]
	ds_write_b128 v248, v[204:207] offset:1632
	ds_write_b128 v248, v[200:203] offset:3264
	;; [unrolled: 1-line block ×14, first 2 shown]
	s_waitcnt lgkmcnt(0)
	s_barrier
	buffer_gl0_inv
	s_and_saveexec_b32 s2, vcc_lo
	s_cbranch_execz .LBB0_13
; %bb.12:
	v_add_co_u32 v0, s1, s12, v255
	v_add_co_ci_u32_e64 v1, null, s13, 0, s1
	v_add_co_u32 v2, s1, 0x5800, v0
	v_add_co_ci_u32_e64 v3, s1, 0, v1, s1
	global_load_dwordx4 v[180:183], v[2:3], off offset:1952
	v_add_co_u32 v2, s1, 0x5fa0, v0
	v_add_co_ci_u32_e64 v3, s1, 0, v1, s1
	global_load_dwordx4 v[176:179], v[2:3], off offset:1440
	v_add_co_u32 v2, s1, 0x6800, v0
	v_add_co_ci_u32_e64 v3, s1, 0, v1, s1
	v_add_co_u32 v4, s1, 0x7000, v0
	v_add_co_ci_u32_e64 v5, s1, 0, v1, s1
	s_clause 0x1
	global_load_dwordx4 v[232:235], v[2:3], off offset:736
	global_load_dwordx4 v[228:231], v[4:5], off offset:128
	v_add_co_u32 v2, s1, 0x7800, v0
	v_add_co_ci_u32_e64 v3, s1, 0, v1, s1
	global_load_dwordx4 v[236:239], v[4:5], off offset:1568
	v_add_co_u32 v4, s1, 0x8000, v0
	v_add_co_ci_u32_e64 v5, s1, 0, v1, s1
	s_clause 0x1
	global_load_dwordx4 v[244:247], v[2:3], off offset:960
	global_load_dwordx4 v[240:243], v[4:5], off offset:352
	v_add_co_u32 v6, s1, 0x8800, v0
	v_add_co_ci_u32_e64 v7, s1, 0, v1, s1
	v_add_co_u32 v14, s1, 0x9000, v0
	v_add_co_ci_u32_e64 v15, s1, 0, v1, s1
	s_clause 0x1
	global_load_dwordx4 v[2:5], v[4:5], off offset:1792
	global_load_dwordx4 v[6:9], v[6:7], off offset:1184
	v_add_co_u32 v18, s1, 0x9800, v0
	global_load_dwordx4 v[10:13], v[14:15], off offset:576
	v_add_co_ci_u32_e64 v19, s1, 0, v1, s1
	v_add_co_u32 v22, s1, 0xa000, v0
	v_add_co_ci_u32_e64 v23, s1, 0, v1, s1
	v_add_co_u32 v30, s1, 0xa800, v0
	;; [unrolled: 2-line block ×3, first 2 shown]
	v_add_co_ci_u32_e64 v35, s1, 0, v1, s1
	global_load_dwordx4 v[14:17], v[14:15], off offset:2016
	v_add_co_u32 v0, s1, 0xb800, v0
	s_clause 0x1
	global_load_dwordx4 v[18:21], v[18:19], off offset:1408
	global_load_dwordx4 v[22:25], v[22:23], off offset:800
	v_add_co_ci_u32_e64 v1, s1, 0, v1, s1
	s_clause 0x3
	global_load_dwordx4 v[26:29], v[30:31], off offset:192
	global_load_dwordx4 v[30:33], v[30:31], off offset:1632
	;; [unrolled: 1-line block ×4, first 2 shown]
	ds_read_b128 v[34:37], v248
	s_waitcnt vmcnt(16) lgkmcnt(0)
	v_mul_f64 v[0:1], v[36:37], v[182:183]
	v_mul_f64 v[38:39], v[34:35], v[182:183]
	v_fma_f64 v[34:35], v[34:35], v[180:181], -v[0:1]
	v_fma_f64 v[36:37], v[36:37], v[180:181], v[38:39]
	ds_write_b128 v248, v[34:37]
	ds_read_b128 v[34:37], v255 offset:1440
	ds_read_b128 v[180:183], v255 offset:2880
	;; [unrolled: 1-line block ×8, first 2 shown]
	s_waitcnt vmcnt(15) lgkmcnt(7)
	v_mul_f64 v[0:1], v[36:37], v[178:179]
	v_mul_f64 v[62:63], v[34:35], v[178:179]
	s_waitcnt vmcnt(14) lgkmcnt(6)
	v_mul_f64 v[66:67], v[182:183], v[234:235]
	v_mul_f64 v[68:69], v[180:181], v[234:235]
	;; [unrolled: 3-line block ×5, first 2 shown]
	s_waitcnt vmcnt(10) lgkmcnt(2)
	v_mul_f64 v[76:77], v[50:51], v[242:243]
	s_waitcnt vmcnt(9) lgkmcnt(1)
	v_mul_f64 v[78:79], v[56:57], v[4:5]
	v_mul_f64 v[4:5], v[54:55], v[4:5]
	s_waitcnt vmcnt(8) lgkmcnt(0)
	v_mul_f64 v[80:81], v[60:61], v[8:9]
	v_mul_f64 v[8:9], v[58:59], v[8:9]
	v_fma_f64 v[34:35], v[34:35], v[176:177], -v[0:1]
	v_fma_f64 v[36:37], v[36:37], v[176:177], v[62:63]
	ds_read_b128 v[176:179], v255 offset:12960
	ds_read_b128 v[62:65], v255 offset:14400
	v_mul_f64 v[0:1], v[52:53], v[242:243]
	v_fma_f64 v[180:181], v[180:181], v[232:233], -v[66:67]
	v_fma_f64 v[182:183], v[182:183], v[232:233], v[68:69]
	v_fma_f64 v[38:39], v[38:39], v[228:229], -v[70:71]
	v_fma_f64 v[40:41], v[40:41], v[228:229], v[72:73]
	ds_read_b128 v[228:231], v255 offset:15840
	ds_read_b128 v[232:235], v255 offset:17280
	v_fma_f64 v[42:43], v[42:43], v[236:237], -v[74:75]
	v_fma_f64 v[44:45], v[44:45], v[236:237], v[238:239]
	ds_read_b128 v[236:239], v255 offset:18720
	ds_read_b128 v[66:69], v255 offset:20160
	;; [unrolled: 4-line block ×3, first 2 shown]
	v_fma_f64 v[52:53], v[52:53], v[240:241], v[76:77]
	s_waitcnt vmcnt(7) lgkmcnt(7)
	v_mul_f64 v[74:75], v[178:179], v[12:13]
	v_mul_f64 v[12:13], v[176:177], v[12:13]
	s_waitcnt vmcnt(6) lgkmcnt(6)
	v_mul_f64 v[76:77], v[64:65], v[16:17]
	v_mul_f64 v[16:17], v[62:63], v[16:17]
	v_fma_f64 v[50:51], v[50:51], v[240:241], -v[0:1]
	v_fma_f64 v[0:1], v[54:55], v[2:3], -v[78:79]
	s_waitcnt vmcnt(5) lgkmcnt(5)
	v_mul_f64 v[54:55], v[230:231], v[20:21]
	v_mul_f64 v[20:21], v[228:229], v[20:21]
	v_fma_f64 v[2:3], v[56:57], v[2:3], v[4:5]
	s_waitcnt vmcnt(4) lgkmcnt(4)
	v_mul_f64 v[56:57], v[234:235], v[24:25]
	v_mul_f64 v[24:25], v[232:233], v[24:25]
	v_fma_f64 v[4:5], v[58:59], v[6:7], -v[80:81]
	s_waitcnt vmcnt(3) lgkmcnt(3)
	v_mul_f64 v[58:59], v[238:239], v[28:29]
	v_mul_f64 v[28:29], v[236:237], v[28:29]
	v_fma_f64 v[6:7], v[60:61], v[6:7], v[8:9]
	s_waitcnt vmcnt(2) lgkmcnt(2)
	v_mul_f64 v[60:61], v[68:69], v[32:33]
	v_mul_f64 v[32:33], v[66:67], v[32:33]
	s_waitcnt vmcnt(1) lgkmcnt(1)
	v_mul_f64 v[78:79], v[242:243], v[118:119]
	s_waitcnt vmcnt(0) lgkmcnt(0)
	v_mul_f64 v[80:81], v[72:73], v[251:252]
	v_mul_f64 v[82:83], v[70:71], v[251:252]
	v_fma_f64 v[8:9], v[176:177], v[10:11], -v[74:75]
	v_mul_f64 v[74:75], v[244:245], v[118:119]
	v_fma_f64 v[10:11], v[178:179], v[10:11], v[12:13]
	v_fma_f64 v[12:13], v[62:63], v[14:15], -v[76:77]
	v_fma_f64 v[14:15], v[64:65], v[14:15], v[16:17]
	v_fma_f64 v[16:17], v[228:229], v[18:19], -v[54:55]
	;; [unrolled: 2-line block ×5, first 2 shown]
	v_fma_f64 v[30:31], v[68:69], v[30:31], v[32:33]
	v_fma_f64 v[56:57], v[244:245], v[116:117], v[78:79]
	v_fma_f64 v[58:59], v[70:71], v[249:250], -v[80:81]
	v_fma_f64 v[60:61], v[72:73], v[249:250], v[82:83]
	v_fma_f64 v[54:55], v[242:243], v[116:117], -v[74:75]
	ds_write_b128 v255, v[34:37] offset:1440
	ds_write_b128 v255, v[180:183] offset:2880
	;; [unrolled: 1-line block ×16, first 2 shown]
.LBB0_13:
	s_or_b32 exec_lo, exec_lo, s2
	s_waitcnt lgkmcnt(0)
	s_barrier
	buffer_gl0_inv
	s_and_saveexec_b32 s1, vcc_lo
	s_cbranch_execz .LBB0_15
; %bb.14:
	ds_read_b128 v[160:163], v248
	ds_read_b128 v[208:211], v248 offset:1440
	ds_read_b128 v[212:215], v248 offset:2880
	ds_read_b128 v[216:219], v248 offset:4320
	ds_read_b128 v[188:191], v248 offset:5760
	ds_read_b128 v[204:207], v248 offset:7200
	ds_read_b128 v[192:195], v248 offset:8640
	ds_read_b128 v[224:227], v248 offset:10080
	ds_read_b128 v[220:223], v248 offset:11520
	ds_read_b128 v[184:187], v248 offset:12960
	ds_read_b128 v[200:203], v248 offset:14400
	ds_read_b128 v[196:199], v248 offset:15840
	ds_read_b128 v[172:175], v248 offset:17280
	ds_read_b128 v[168:171], v248 offset:18720
	ds_read_b128 v[164:167], v248 offset:20160
	ds_read_b128 v[156:159], v248 offset:21600
	ds_read_b128 v[152:155], v248 offset:23040
.LBB0_15:
	s_or_b32 exec_lo, exec_lo, s1
	s_waitcnt lgkmcnt(0)
	v_add_f64 v[28:29], v[210:211], -v[154:155]
	v_add_f64 v[30:31], v[210:211], v[154:155]
	s_mov_b32 s2, 0x5d8e7cdc
	s_mov_b32 s10, 0x370991
	;; [unrolled: 1-line block ×4, first 2 shown]
	v_add_f64 v[26:27], v[208:209], v[152:153]
	v_add_f64 v[234:235], v[214:215], -v[158:159]
	v_add_f64 v[32:33], v[208:209], -v[152:153]
	v_add_f64 v[240:241], v[214:215], v[158:159]
	s_mov_b32 s22, 0x2a9d6da3
	s_mov_b32 s8, 0x75d4884
	s_mov_b32 s23, 0xbfe58eea
	s_mov_b32 s9, 0x3fe7a5f6
	v_add_f64 v[228:229], v[212:213], v[156:157]
	v_add_f64 v[230:231], v[218:219], -v[166:167]
	v_add_f64 v[238:239], v[212:213], -v[156:157]
	v_add_f64 v[246:247], v[218:219], v[166:167]
	s_mov_b32 s24, 0x7c9e640b
	s_mov_b32 s16, 0x2b2883cd
	;; [unrolled: 1-line block ×4, first 2 shown]
	v_mul_f64 v[0:1], v[28:29], s[2:3]
	v_mul_f64 v[2:3], v[30:31], s[10:11]
	v_add_f64 v[232:233], v[216:217], v[164:165]
	v_add_f64 v[242:243], v[190:191], -v[170:171]
	v_add_f64 v[236:237], v[216:217], -v[164:165]
	v_add_f64 v[118:119], v[190:191], v[170:171]
	s_mov_b32 s18, 0xeb564b22
	v_mul_f64 v[42:43], v[234:235], s[22:23]
	s_mov_b32 s20, 0x3259b75e
	v_mul_f64 v[46:47], v[240:241], s[8:9]
	s_mov_b32 s19, 0xbfefdd0d
	s_mov_b32 s21, 0x3fb79ee6
	v_add_f64 v[244:245], v[188:189], v[168:169]
	v_add_f64 v[253:254], v[206:207], -v[174:175]
	s_mov_b32 s38, 0x923c349f
	v_mul_f64 v[44:45], v[230:231], s[24:25]
	s_mov_b32 s39, 0xbfeec746
	v_mul_f64 v[58:59], v[246:247], s[16:17]
	v_add_f64 v[116:117], v[204:205], v[172:173]
	v_add_f64 v[16:17], v[206:207], v[174:175]
	s_mov_b32 s34, 0xc61f0d01
	s_mov_b32 s35, 0xbfd183b1
	buffer_store_dword v0, off, s[60:63], 0 offset:444 ; 4-byte Folded Spill
	buffer_store_dword v1, off, s[60:63], 0 offset:448 ; 4-byte Folded Spill
	;; [unrolled: 1-line block ×4, first 2 shown]
	v_add_f64 v[18:19], v[204:205], -v[172:173]
	v_mul_f64 v[52:53], v[242:243], s[18:19]
	v_add_f64 v[22:23], v[194:195], v[198:199]
	v_mul_f64 v[54:55], v[118:119], s[20:21]
	s_mov_b32 s26, 0x6ed5f1bb
	v_fma_f64 v[4:5], v[228:229], s[8:9], -v[42:43]
	s_mov_b32 s27, 0xbfe348c8
	v_fma_f64 v[6:7], v[238:239], s[22:23], v[46:47]
	v_add_f64 v[24:25], v[192:193], -v[196:197]
	v_add_f64 v[12:13], v[226:227], -v[202:203]
	s_mov_b32 s44, 0x4363dd80
	v_mul_f64 v[48:49], v[253:254], s[38:39]
	s_mov_b32 s45, 0x3fe0d888
	v_fma_f64 v[10:11], v[232:233], s[16:17], -v[44:45]
	s_mov_b32 s37, 0xbfe0d888
	s_mov_b32 s36, s44
	;; [unrolled: 1-line block ×3, first 2 shown]
	v_mul_f64 v[64:65], v[16:17], s[34:35]
	s_mov_b32 s31, 0xbfeb34fa
	v_add_f64 v[20:21], v[224:225], -v[200:201]
	s_mov_b32 s51, 0xbfc7851a
	s_mov_b32 s50, 0xacd6c6b4
	v_add_f64 v[249:250], v[220:221], v[184:185]
	s_mov_b32 s40, 0x7faef3
	v_mul_f64 v[68:69], v[22:23], s[26:27]
	s_mov_b32 s41, 0xbfef7484
	v_add_f64 v[251:252], v[222:223], v[186:187]
	v_mul_f64 v[40:41], v[240:241], s[20:21]
	v_mul_f64 v[80:81], v[253:254], s[44:45]
	;; [unrolled: 1-line block ×3, first 2 shown]
	s_mov_b32 s49, 0x3feec746
	v_mul_f64 v[62:63], v[12:13], s[36:37]
	s_mov_b32 s48, s38
	v_mul_f64 v[78:79], v[22:23], s[34:35]
	s_mov_b32 s47, 0x3feca52d
	s_mov_b32 s46, s24
	;; [unrolled: 1-line block ×3, first 2 shown]
	v_mul_f64 v[72:73], v[12:13], s[46:47]
	s_mov_b32 s42, s2
	v_mul_f64 v[56:57], v[251:252], s[40:41]
	v_fma_f64 v[0:1], v[26:27], s[10:11], -v[0:1]
	v_fma_f64 v[2:3], v[32:33], s[2:3], v[2:3]
	v_add_f64 v[0:1], v[160:161], v[0:1]
	v_add_f64 v[8:9], v[162:163], v[2:3]
	v_add_f64 v[2:3], v[188:189], -v[168:169]
	v_add_f64 v[0:1], v[4:5], v[0:1]
	v_add_f64 v[4:5], v[6:7], v[8:9]
	v_fma_f64 v[6:7], v[236:237], s[24:25], v[58:59]
	v_fma_f64 v[8:9], v[244:245], s[20:21], -v[52:53]
	v_add_f64 v[0:1], v[10:11], v[0:1]
	v_add_f64 v[4:5], v[6:7], v[4:5]
	v_fma_f64 v[6:7], v[2:3], s[18:19], v[54:55]
	v_add_f64 v[0:1], v[8:9], v[0:1]
	v_add_f64 v[8:9], v[194:195], -v[198:199]
	v_add_f64 v[4:5], v[6:7], v[4:5]
	v_fma_f64 v[6:7], v[116:117], s[34:35], -v[48:49]
	v_mul_f64 v[60:61], v[8:9], s[28:29]
	v_mul_f64 v[76:77], v[8:9], s[48:49]
	v_add_f64 v[0:1], v[6:7], v[0:1]
	v_fma_f64 v[6:7], v[18:19], s[38:39], v[64:65]
	v_add_f64 v[4:5], v[6:7], v[4:5]
	v_add_f64 v[6:7], v[192:193], v[196:197]
	v_fma_f64 v[10:11], v[6:7], s[26:27], -v[60:61]
	v_add_f64 v[0:1], v[10:11], v[0:1]
	v_fma_f64 v[10:11], v[24:25], s[28:29], v[68:69]
	v_add_f64 v[10:11], v[10:11], v[4:5]
	v_add_f64 v[4:5], v[224:225], v[200:201]
	v_fma_f64 v[14:15], v[4:5], s[30:31], -v[62:63]
	v_add_f64 v[34:35], v[14:15], v[0:1]
	v_add_f64 v[14:15], v[226:227], v[202:203]
	v_mul_f64 v[66:67], v[14:15], s[30:31]
	v_mul_f64 v[74:75], v[14:15], s[16:17]
	v_fma_f64 v[0:1], v[20:21], s[36:37], v[66:67]
	v_add_f64 v[36:37], v[0:1], v[10:11]
	v_add_f64 v[0:1], v[222:223], -v[186:187]
	v_mul_f64 v[50:51], v[0:1], s[50:51]
	v_mul_f64 v[70:71], v[0:1], s[42:43]
	v_fma_f64 v[10:11], v[249:250], s[40:41], -v[50:51]
	v_add_f64 v[176:177], v[10:11], v[34:35]
	v_add_f64 v[10:11], v[220:221], -v[184:185]
	v_fma_f64 v[34:35], v[10:11], s[50:51], v[56:57]
	v_add_f64 v[178:179], v[34:35], v[36:37]
	v_mul_f64 v[34:35], v[28:29], s[22:23]
	v_mul_f64 v[36:37], v[234:235], s[18:19]
	buffer_store_dword v34, off, s[60:63], 0 offset:460 ; 4-byte Folded Spill
	buffer_store_dword v35, off, s[60:63], 0 offset:464 ; 4-byte Folded Spill
	;; [unrolled: 1-line block ×6, first 2 shown]
	v_fma_f64 v[34:35], v[26:27], s[8:9], -v[34:35]
	v_fma_f64 v[36:37], v[228:229], s[20:21], -v[36:37]
	v_fma_f64 v[40:41], v[238:239], s[18:19], v[40:41]
	v_add_f64 v[34:35], v[160:161], v[34:35]
	v_add_f64 v[36:37], v[36:37], v[34:35]
	v_mul_f64 v[34:35], v[30:31], s[8:9]
	v_fma_f64 v[38:39], v[32:33], s[22:23], v[34:35]
	v_add_f64 v[38:39], v[162:163], v[38:39]
	v_add_f64 v[38:39], v[40:41], v[38:39]
	v_mul_f64 v[40:41], v[230:231], s[28:29]
	buffer_store_dword v40, off, s[60:63], 0 offset:420 ; 4-byte Folded Spill
	buffer_store_dword v41, off, s[60:63], 0 offset:424 ; 4-byte Folded Spill
	v_fma_f64 v[40:41], v[232:233], s[26:27], -v[40:41]
	v_add_f64 v[36:37], v[40:41], v[36:37]
	v_mul_f64 v[40:41], v[246:247], s[26:27]
	buffer_store_dword v40, off, s[60:63], 0 offset:428 ; 4-byte Folded Spill
	buffer_store_dword v41, off, s[60:63], 0 offset:432 ; 4-byte Folded Spill
	v_fma_f64 v[40:41], v[236:237], s[28:29], v[40:41]
	v_add_f64 v[38:39], v[40:41], v[38:39]
	v_mul_f64 v[40:41], v[242:243], s[50:51]
	buffer_store_dword v40, off, s[60:63], 0 offset:396 ; 4-byte Folded Spill
	buffer_store_dword v41, off, s[60:63], 0 offset:400 ; 4-byte Folded Spill
	v_fma_f64 v[40:41], v[244:245], s[40:41], -v[40:41]
	v_add_f64 v[36:37], v[40:41], v[36:37]
	v_mul_f64 v[40:41], v[118:119], s[40:41]
	buffer_store_dword v40, off, s[60:63], 0 offset:412 ; 4-byte Folded Spill
	buffer_store_dword v41, off, s[60:63], 0 offset:416 ; 4-byte Folded Spill
	s_waitcnt_vscnt null, 0x0
	s_barrier
	buffer_gl0_inv
	v_fma_f64 v[40:41], v[2:3], s[50:51], v[40:41]
	v_add_f64 v[38:39], v[40:41], v[38:39]
	v_fma_f64 v[40:41], v[116:117], s[30:31], -v[80:81]
	v_add_f64 v[36:37], v[40:41], v[36:37]
	v_fma_f64 v[40:41], v[18:19], s[44:45], v[82:83]
	v_add_f64 v[38:39], v[40:41], v[38:39]
	v_fma_f64 v[40:41], v[6:7], s[34:35], -v[76:77]
	v_add_f64 v[36:37], v[40:41], v[36:37]
	;; [unrolled: 4-line block ×4, first 2 shown]
	v_mul_f64 v[40:41], v[251:252], s[10:11]
	v_fma_f64 v[36:37], v[10:11], s[42:43], v[40:41]
	v_add_f64 v[182:183], v[36:37], v[38:39]
	s_and_saveexec_b32 s1, vcc_lo
	s_cbranch_execz .LBB0_17
; %bb.16:
	buffer_store_dword v40, off, s[60:63], 0 offset:476 ; 4-byte Folded Spill
	buffer_store_dword v41, off, s[60:63], 0 offset:480 ; 4-byte Folded Spill
	;; [unrolled: 1-line block ×18, first 2 shown]
	s_clause 0x1
	buffer_load_dword v64, off, s[60:63], 0 offset:460
	buffer_load_dword v65, off, s[60:63], 0 offset:464
	v_add_f64 v[36:37], v[162:163], v[210:211]
	v_add_f64 v[38:39], v[160:161], v[208:209]
	v_mul_f64 v[40:41], v[32:33], s[50:51]
	v_mul_f64 v[48:49], v[32:33], s[28:29]
	;; [unrolled: 1-line block ×5, first 2 shown]
	buffer_store_dword v66, off, s[60:63], 0 offset:460 ; 4-byte Folded Spill
	buffer_store_dword v67, off, s[60:63], 0 offset:464 ; 4-byte Folded Spill
	s_mov_b32 s53, 0x3fe58eea
	s_mov_b32 s52, s22
	v_mul_f64 v[208:209], v[8:9], s[46:47]
	v_mul_f64 v[210:211], v[20:21], s[38:39]
	s_mov_b32 s55, 0x3fefdd0d
	s_mov_b32 s54, s18
	;; [unrolled: 1-line block ×4, first 2 shown]
	v_add_f64 v[36:37], v[36:37], v[214:215]
	v_add_f64 v[38:39], v[38:39], v[212:213]
	v_mul_f64 v[212:213], v[12:13], s[38:39]
	v_fma_f64 v[50:51], v[30:31], s[26:27], v[48:49]
	v_fma_f64 v[48:49], v[30:31], s[26:27], -v[48:49]
	v_fma_f64 v[54:55], v[30:31], s[34:35], v[52:53]
	v_fma_f64 v[52:53], v[30:31], s[34:35], -v[52:53]
	v_fma_f64 v[62:63], v[30:31], s[16:17], v[60:61]
	v_mul_f64 v[214:215], v[10:11], s[54:55]
	v_add_f64 v[36:37], v[36:37], v[218:219]
	v_add_f64 v[38:39], v[38:39], v[216:217]
	v_mov_b32_e32 v219, v43
	v_mov_b32_e32 v217, v59
	;; [unrolled: 1-line block ×3, first 2 shown]
	v_fma_f64 v[42:43], v[30:31], s[40:41], v[40:41]
	v_fma_f64 v[40:41], v[30:31], s[40:41], -v[40:41]
	v_mov_b32_e32 v216, v58
	v_fma_f64 v[58:59], v[30:31], s[20:21], v[56:57]
	v_fma_f64 v[56:57], v[30:31], s[20:21], -v[56:57]
	v_add_f64 v[50:51], v[162:163], v[50:51]
	v_add_f64 v[48:49], v[162:163], v[48:49]
	;; [unrolled: 1-line block ×17, first 2 shown]
	v_mov_b32_e32 v227, v45
	v_mov_b32_e32 v226, v44
	v_mul_f64 v[44:45], v[32:33], s[36:37]
	v_mov_b32_e32 v225, v81
	v_mov_b32_e32 v224, v80
	v_add_f64 v[36:37], v[36:37], v[222:223]
	v_add_f64 v[38:39], v[38:39], v[220:221]
	v_mov_b32_e32 v221, v47
	v_mov_b32_e32 v220, v46
	v_fma_f64 v[46:47], v[30:31], s[30:31], v[44:45]
	v_fma_f64 v[44:45], v[30:31], s[30:31], -v[44:45]
	v_fma_f64 v[30:31], v[30:31], s[16:17], -v[60:61]
	v_mul_f64 v[60:61], v[32:33], s[22:23]
	v_mul_f64 v[32:33], v[32:33], s[2:3]
	v_mov_b32_e32 v223, v83
	v_mov_b32_e32 v222, v82
	v_add_f64 v[36:37], v[36:37], v[186:187]
	v_add_f64 v[38:39], v[38:39], v[184:185]
	;; [unrolled: 1-line block ×5, first 2 shown]
	v_add_f64 v[60:61], v[34:35], -v[60:61]
	v_mul_f64 v[34:35], v[26:27], s[8:9]
	v_add_f64 v[36:37], v[36:37], v[202:203]
	v_add_f64 v[38:39], v[38:39], v[200:201]
	v_mul_f64 v[200:201], v[253:254], s[28:29]
	v_mul_f64 v[202:203], v[24:25], s[46:47]
	v_add_f64 v[36:37], v[36:37], v[198:199]
	v_add_f64 v[38:39], v[38:39], v[196:197]
	v_mul_f64 v[196:197], v[24:25], s[50:51]
	v_mul_f64 v[198:199], v[8:9], s[50:51]
	v_add_f64 v[36:37], v[36:37], v[174:175]
	v_add_f64 v[38:39], v[38:39], v[172:173]
	;; [unrolled: 1-line block ×3, first 2 shown]
	s_waitcnt vmcnt(0)
	v_add_f64 v[64:65], v[34:35], v[64:65]
	s_clause 0x1
	buffer_load_dword v34, off, s[60:63], 0 offset:452
	buffer_load_dword v35, off, s[60:63], 0 offset:456
	buffer_store_dword v68, off, s[60:63], 0 offset:524 ; 4-byte Folded Spill
	buffer_store_dword v69, off, s[60:63], 0 offset:528 ; 4-byte Folded Spill
	buffer_store_dword v70, off, s[60:63], 0 offset:452 ; 4-byte Folded Spill
	buffer_store_dword v71, off, s[60:63], 0 offset:456 ; 4-byte Folded Spill
	buffer_store_dword v72, off, s[60:63], 0 offset:500 ; 4-byte Folded Spill
	buffer_store_dword v73, off, s[60:63], 0 offset:504 ; 4-byte Folded Spill
	buffer_store_dword v74, off, s[60:63], 0 offset:508 ; 4-byte Folded Spill
	buffer_store_dword v75, off, s[60:63], 0 offset:512 ; 4-byte Folded Spill
	buffer_store_dword v76, off, s[60:63], 0 offset:540 ; 4-byte Folded Spill
	buffer_store_dword v77, off, s[60:63], 0 offset:544 ; 4-byte Folded Spill
	buffer_store_dword v78, off, s[60:63], 0 offset:548 ; 4-byte Folded Spill
	buffer_store_dword v79, off, s[60:63], 0 offset:552 ; 4-byte Folded Spill
	s_clause 0x1
	buffer_load_dword v186, off, s[60:63], 0 offset:444
	buffer_load_dword v187, off, s[60:63], 0 offset:448
	v_mul_f64 v[72:73], v[28:29], s[18:19]
	v_mul_f64 v[68:69], v[28:29], s[28:29]
	;; [unrolled: 1-line block ×3, first 2 shown]
	v_fma_f64 v[82:83], v[26:27], s[20:21], -v[72:73]
	v_fma_f64 v[72:73], v[26:27], s[20:21], v[72:73]
	v_fma_f64 v[78:79], v[26:27], s[26:27], -v[68:69]
	v_fma_f64 v[68:69], v[26:27], s[26:27], v[68:69]
	v_fma_f64 v[80:81], v[26:27], s[34:35], -v[70:71]
	v_fma_f64 v[70:71], v[26:27], s[34:35], v[70:71]
	v_add_f64 v[82:83], v[160:161], v[82:83]
	v_add_f64 v[192:193], v[160:161], v[72:73]
	;; [unrolled: 1-line block ×6, first 2 shown]
	s_waitcnt vmcnt(2)
	v_add_f64 v[66:67], v[34:35], -v[32:33]
	v_mul_f64 v[32:33], v[28:29], s[50:51]
	v_mul_f64 v[34:35], v[28:29], s[36:37]
	;; [unrolled: 1-line block ×3, first 2 shown]
	v_add_f64 v[30:31], v[162:163], v[66:67]
	v_fma_f64 v[74:75], v[26:27], s[40:41], -v[32:33]
	v_fma_f64 v[32:33], v[26:27], s[40:41], v[32:33]
	v_mul_f64 v[66:67], v[236:237], s[36:37]
	v_fma_f64 v[76:77], v[26:27], s[30:31], -v[34:35]
	v_fma_f64 v[34:35], v[26:27], s[30:31], v[34:35]
	v_fma_f64 v[184:185], v[26:27], s[16:17], -v[28:29]
	v_fma_f64 v[28:29], v[26:27], s[16:17], v[28:29]
	v_mul_f64 v[26:27], v[26:27], s[10:11]
	v_add_f64 v[74:75], v[160:161], v[74:75]
	v_add_f64 v[204:205], v[160:161], v[32:33]
	;; [unrolled: 1-line block ×3, first 2 shown]
	v_mul_f64 v[60:61], v[238:239], s[42:43]
	v_fma_f64 v[72:73], v[246:247], s[30:31], v[66:67]
	v_add_f64 v[76:77], v[160:161], v[76:77]
	v_add_f64 v[206:207], v[160:161], v[34:35]
	s_waitcnt vmcnt(0)
	v_add_f64 v[186:187], v[26:27], v[186:187]
	v_add_f64 v[26:27], v[160:161], v[64:65]
	;; [unrolled: 1-line block ×4, first 2 shown]
	v_mul_f64 v[184:185], v[242:243], s[52:53]
	v_fma_f64 v[62:63], v[240:241], s[10:11], v[60:61]
	v_fma_f64 v[60:61], v[240:241], s[10:11], -v[60:61]
	v_add_f64 v[28:29], v[160:161], v[186:187]
	v_mul_f64 v[186:187], v[18:19], s[28:29]
	v_add_f64 v[42:43], v[62:63], v[42:43]
	v_mul_f64 v[62:63], v[234:235], s[42:43]
	v_add_f64 v[40:41], v[60:61], v[40:41]
	v_add_f64 v[42:43], v[72:73], v[42:43]
	v_fma_f64 v[64:65], v[228:229], s[10:11], -v[62:63]
	v_mul_f64 v[72:73], v[230:231], s[36:37]
	v_fma_f64 v[60:61], v[228:229], s[10:11], v[62:63]
	v_fma_f64 v[62:63], v[246:247], s[30:31], -v[66:67]
	v_add_f64 v[64:65], v[64:65], v[74:75]
	v_fma_f64 v[74:75], v[232:233], s[30:31], -v[72:73]
	v_add_f64 v[60:61], v[60:61], v[204:205]
	v_add_f64 v[40:41], v[62:63], v[40:41]
	v_fma_f64 v[62:63], v[232:233], s[30:31], v[72:73]
	v_mul_f64 v[204:205], v[10:11], s[38:39]
	v_add_f64 v[64:65], v[74:75], v[64:65]
	v_mul_f64 v[74:75], v[2:3], s[52:53]
	v_add_f64 v[60:61], v[62:63], v[60:61]
	v_fma_f64 v[160:161], v[118:119], s[8:9], v[74:75]
	v_fma_f64 v[62:63], v[118:119], s[8:9], -v[74:75]
	v_add_f64 v[42:43], v[160:161], v[42:43]
	v_fma_f64 v[160:161], v[244:245], s[8:9], -v[184:185]
	v_add_f64 v[40:41], v[62:63], v[40:41]
	v_fma_f64 v[62:63], v[244:245], s[8:9], v[184:185]
	v_add_f64 v[64:65], v[160:161], v[64:65]
	v_fma_f64 v[160:161], v[16:17], s[26:27], v[186:187]
	v_add_f64 v[60:61], v[62:63], v[60:61]
	v_fma_f64 v[62:63], v[16:17], s[26:27], -v[186:187]
	v_add_f64 v[42:43], v[160:161], v[42:43]
	v_fma_f64 v[160:161], v[116:117], s[26:27], -v[200:201]
	v_add_f64 v[40:41], v[62:63], v[40:41]
	v_fma_f64 v[62:63], v[116:117], s[26:27], v[200:201]
	v_mul_f64 v[200:201], v[20:21], s[52:53]
	v_add_f64 v[64:65], v[160:161], v[64:65]
	v_fma_f64 v[160:161], v[22:23], s[16:17], v[202:203]
	v_add_f64 v[60:61], v[62:63], v[60:61]
	v_fma_f64 v[62:63], v[22:23], s[16:17], -v[202:203]
	v_mul_f64 v[202:203], v[12:13], s[52:53]
	v_add_f64 v[42:43], v[160:161], v[42:43]
	v_fma_f64 v[160:161], v[6:7], s[16:17], -v[208:209]
	v_add_f64 v[40:41], v[62:63], v[40:41]
	v_fma_f64 v[62:63], v[6:7], s[16:17], v[208:209]
	v_add_f64 v[64:65], v[160:161], v[64:65]
	v_fma_f64 v[160:161], v[14:15], s[34:35], v[210:211]
	v_add_f64 v[60:61], v[62:63], v[60:61]
	v_fma_f64 v[62:63], v[14:15], s[34:35], -v[210:211]
	v_add_f64 v[42:43], v[160:161], v[42:43]
	v_fma_f64 v[160:161], v[4:5], s[34:35], -v[212:213]
	v_add_f64 v[40:41], v[62:63], v[40:41]
	v_fma_f64 v[62:63], v[4:5], s[34:35], v[212:213]
	v_add_f64 v[64:65], v[160:161], v[64:65]
	v_fma_f64 v[160:161], v[251:252], s[20:21], v[214:215]
	v_add_f64 v[60:61], v[62:63], v[60:61]
	v_fma_f64 v[62:63], v[251:252], s[20:21], -v[214:215]
	v_add_f64 v[162:163], v[160:161], v[42:43]
	v_mul_f64 v[42:43], v[0:1], s[54:55]
	v_add_f64 v[186:187], v[62:63], v[40:41]
	v_mul_f64 v[40:41], v[238:239], s[46:47]
	v_mul_f64 v[62:63], v[236:237], s[18:19]
	v_fma_f64 v[160:161], v[249:250], s[20:21], -v[42:43]
	v_fma_f64 v[42:43], v[249:250], s[20:21], v[42:43]
	v_add_f64 v[160:161], v[160:161], v[64:65]
	v_add_f64 v[184:185], v[42:43], v[60:61]
	v_fma_f64 v[42:43], v[240:241], s[16:17], v[40:41]
	v_fma_f64 v[64:65], v[246:247], s[20:21], v[62:63]
	v_add_f64 v[42:43], v[42:43], v[46:47]
	v_mul_f64 v[46:47], v[234:235], s[46:47]
	v_add_f64 v[42:43], v[64:65], v[42:43]
	v_fma_f64 v[60:61], v[228:229], s[16:17], -v[46:47]
	v_mul_f64 v[64:65], v[230:231], s[18:19]
	v_fma_f64 v[38:39], v[228:229], s[16:17], v[46:47]
	v_add_f64 v[46:47], v[168:169], v[164:165]
	v_add_f64 v[60:61], v[60:61], v[76:77]
	v_fma_f64 v[66:67], v[232:233], s[20:21], -v[64:65]
	v_add_f64 v[38:39], v[38:39], v[206:207]
	v_add_f64 v[46:47], v[46:47], v[156:157]
	v_mul_f64 v[156:157], v[10:11], s[50:51]
	v_add_f64 v[60:61], v[66:67], v[60:61]
	v_mul_f64 v[66:67], v[2:3], s[56:57]
	v_fma_f64 v[72:73], v[118:119], s[26:27], v[66:67]
	v_add_f64 v[42:43], v[72:73], v[42:43]
	v_mul_f64 v[72:73], v[242:243], s[56:57]
	v_fma_f64 v[74:75], v[244:245], s[26:27], -v[72:73]
	v_add_f64 v[60:61], v[74:75], v[60:61]
	v_mul_f64 v[74:75], v[18:19], s[2:3]
	v_fma_f64 v[76:77], v[16:17], s[10:11], v[74:75]
	v_add_f64 v[42:43], v[76:77], v[42:43]
	v_mul_f64 v[76:77], v[253:254], s[2:3]
	v_fma_f64 v[172:173], v[116:117], s[10:11], -v[76:77]
	v_add_f64 v[60:61], v[172:173], v[60:61]
	v_fma_f64 v[172:173], v[22:23], s[40:41], v[196:197]
	v_add_f64 v[42:43], v[172:173], v[42:43]
	v_fma_f64 v[172:173], v[6:7], s[40:41], -v[198:199]
	v_add_f64 v[60:61], v[172:173], v[60:61]
	v_fma_f64 v[172:173], v[14:15], s[8:9], v[200:201]
	v_add_f64 v[42:43], v[172:173], v[42:43]
	;; [unrolled: 4-line block ×3, first 2 shown]
	v_mul_f64 v[42:43], v[0:1], s[38:39]
	v_fma_f64 v[172:173], v[249:250], s[34:35], -v[42:43]
	v_fma_f64 v[42:43], v[249:250], s[34:35], v[42:43]
	v_add_f64 v[172:173], v[172:173], v[60:61]
	v_add_f64 v[60:61], v[36:37], v[170:171]
	v_fma_f64 v[36:37], v[240:241], s[16:17], -v[40:41]
	v_fma_f64 v[40:41], v[246:247], s[20:21], -v[62:63]
	v_mul_f64 v[62:63], v[236:237], s[2:3]
	v_add_f64 v[36:37], v[36:37], v[44:45]
	v_add_f64 v[44:45], v[60:61], v[166:167]
	v_mul_f64 v[60:61], v[238:239], s[48:49]
	v_add_f64 v[36:37], v[40:41], v[36:37]
	v_fma_f64 v[40:41], v[232:233], s[20:21], v[64:65]
	v_fma_f64 v[64:65], v[246:247], s[10:11], v[62:63]
	v_fma_f64 v[62:63], v[246:247], s[10:11], -v[62:63]
	v_add_f64 v[44:45], v[44:45], v[158:159]
	v_add_f64 v[38:39], v[40:41], v[38:39]
	v_fma_f64 v[40:41], v[118:119], s[26:27], -v[66:67]
	v_add_f64 v[36:37], v[40:41], v[36:37]
	v_fma_f64 v[40:41], v[244:245], s[26:27], v[72:73]
	v_add_f64 v[38:39], v[40:41], v[38:39]
	v_fma_f64 v[40:41], v[16:17], s[10:11], -v[74:75]
	v_add_f64 v[36:37], v[40:41], v[36:37]
	v_fma_f64 v[40:41], v[116:117], s[10:11], v[76:77]
	v_add_f64 v[38:39], v[40:41], v[38:39]
	v_fma_f64 v[40:41], v[22:23], s[40:41], -v[196:197]
	v_mul_f64 v[196:197], v[10:11], s[46:47]
	v_add_f64 v[36:37], v[40:41], v[36:37]
	v_fma_f64 v[40:41], v[6:7], s[40:41], v[198:199]
	v_mul_f64 v[198:199], v[0:1], s[46:47]
	v_add_f64 v[38:39], v[40:41], v[38:39]
	v_fma_f64 v[40:41], v[14:15], s[8:9], -v[200:201]
	v_add_f64 v[36:37], v[40:41], v[36:37]
	v_fma_f64 v[40:41], v[4:5], s[8:9], v[202:203]
	v_add_f64 v[40:41], v[40:41], v[38:39]
	v_fma_f64 v[38:39], v[251:252], s[34:35], -v[204:205]
	v_add_f64 v[38:39], v[38:39], v[36:37]
	v_add_f64 v[36:37], v[42:43], v[40:41]
	v_fma_f64 v[40:41], v[240:241], s[34:35], v[60:61]
	v_fma_f64 v[60:61], v[240:241], s[34:35], -v[60:61]
	v_add_f64 v[40:41], v[40:41], v[50:51]
	v_mul_f64 v[50:51], v[234:235], s[48:49]
	v_add_f64 v[48:49], v[60:61], v[48:49]
	v_mul_f64 v[60:61], v[238:239], s[44:45]
	v_add_f64 v[40:41], v[64:65], v[40:41]
	v_fma_f64 v[42:43], v[228:229], s[34:35], -v[50:51]
	v_mul_f64 v[64:65], v[230:231], s[2:3]
	v_fma_f64 v[50:51], v[228:229], s[34:35], v[50:51]
	v_add_f64 v[48:49], v[62:63], v[48:49]
	v_add_f64 v[42:43], v[42:43], v[78:79]
	v_fma_f64 v[66:67], v[232:233], s[10:11], -v[64:65]
	v_add_f64 v[50:51], v[50:51], v[68:69]
	v_fma_f64 v[62:63], v[232:233], s[10:11], v[64:65]
	v_fma_f64 v[68:69], v[240:241], s[30:31], v[60:61]
	v_fma_f64 v[60:61], v[240:241], s[30:31], -v[60:61]
	v_add_f64 v[42:43], v[66:67], v[42:43]
	v_mul_f64 v[66:67], v[2:3], s[36:37]
	v_add_f64 v[50:51], v[62:63], v[50:51]
	v_add_f64 v[54:55], v[68:69], v[54:55]
	;; [unrolled: 1-line block ×3, first 2 shown]
	v_mul_f64 v[60:61], v[234:235], s[44:45]
	v_fma_f64 v[72:73], v[118:119], s[30:31], v[66:67]
	v_fma_f64 v[62:63], v[118:119], s[30:31], -v[66:67]
	v_add_f64 v[40:41], v[72:73], v[40:41]
	v_mul_f64 v[72:73], v[242:243], s[36:37]
	v_add_f64 v[48:49], v[62:63], v[48:49]
	v_fma_f64 v[74:75], v[244:245], s[30:31], -v[72:73]
	v_add_f64 v[42:43], v[74:75], v[42:43]
	v_mul_f64 v[74:75], v[18:19], s[54:55]
	v_fma_f64 v[76:77], v[16:17], s[20:21], v[74:75]
	v_fma_f64 v[62:63], v[16:17], s[20:21], -v[74:75]
	v_add_f64 v[40:41], v[76:77], v[40:41]
	v_mul_f64 v[76:77], v[253:254], s[54:55]
	v_add_f64 v[48:49], v[62:63], v[48:49]
	v_fma_f64 v[78:79], v[116:117], s[20:21], -v[76:77]
	v_add_f64 v[42:43], v[78:79], v[42:43]
	v_mul_f64 v[78:79], v[24:25], s[22:23]
	v_fma_f64 v[62:63], v[22:23], s[8:9], -v[78:79]
	v_fma_f64 v[164:165], v[22:23], s[8:9], v[78:79]
	v_add_f64 v[48:49], v[62:63], v[48:49]
	v_mul_f64 v[62:63], v[236:237], s[52:53]
	v_add_f64 v[40:41], v[164:165], v[40:41]
	v_mul_f64 v[164:165], v[8:9], s[22:23]
	v_fma_f64 v[64:65], v[246:247], s[8:9], v[62:63]
	v_fma_f64 v[62:63], v[246:247], s[8:9], -v[62:63]
	v_fma_f64 v[166:167], v[6:7], s[8:9], -v[164:165]
	v_add_f64 v[54:55], v[64:65], v[54:55]
	v_add_f64 v[52:53], v[62:63], v[52:53]
	v_fma_f64 v[62:63], v[244:245], s[30:31], v[72:73]
	v_fma_f64 v[64:65], v[228:229], s[30:31], -v[60:61]
	v_fma_f64 v[60:61], v[228:229], s[30:31], v[60:61]
	v_add_f64 v[42:43], v[166:167], v[42:43]
	v_mul_f64 v[166:167], v[20:21], s[50:51]
	v_add_f64 v[50:51], v[62:63], v[50:51]
	v_mul_f64 v[62:63], v[238:239], s[50:51]
	v_add_f64 v[60:61], v[60:61], v[70:71]
	v_add_f64 v[64:65], v[64:65], v[80:81]
	v_fma_f64 v[168:169], v[14:15], s[40:41], v[166:167]
	v_fma_f64 v[66:67], v[240:241], s[40:41], v[62:63]
	v_fma_f64 v[62:63], v[240:241], s[40:41], -v[62:63]
	v_add_f64 v[40:41], v[168:169], v[40:41]
	v_mul_f64 v[168:169], v[12:13], s[50:51]
	v_add_f64 v[58:59], v[66:67], v[58:59]
	v_add_f64 v[56:57], v[62:63], v[56:57]
	v_mul_f64 v[62:63], v[230:231], s[52:53]
	v_mul_f64 v[66:67], v[2:3], s[24:25]
	v_fma_f64 v[170:171], v[4:5], s[40:41], -v[168:169]
	v_fma_f64 v[72:73], v[232:233], s[8:9], -v[62:63]
	v_fma_f64 v[62:63], v[232:233], s[8:9], v[62:63]
	v_fma_f64 v[68:69], v[118:119], s[16:17], v[66:67]
	v_fma_f64 v[66:67], v[118:119], s[16:17], -v[66:67]
	v_add_f64 v[170:171], v[170:171], v[42:43]
	v_fma_f64 v[42:43], v[251:252], s[16:17], v[196:197]
	v_add_f64 v[64:65], v[72:73], v[64:65]
	v_add_f64 v[60:61], v[62:63], v[60:61]
	v_mul_f64 v[62:63], v[236:237], s[48:49]
	v_add_f64 v[52:53], v[66:67], v[52:53]
	v_add_f64 v[54:55], v[68:69], v[54:55]
	v_mul_f64 v[68:69], v[234:235], s[50:51]
	v_add_f64 v[42:43], v[42:43], v[40:41]
	v_fma_f64 v[40:41], v[249:250], s[16:17], -v[198:199]
	v_fma_f64 v[66:67], v[246:247], s[34:35], v[62:63]
	v_fma_f64 v[62:63], v[246:247], s[34:35], -v[62:63]
	v_fma_f64 v[70:71], v[228:229], s[40:41], -v[68:69]
	v_add_f64 v[40:41], v[40:41], v[170:171]
	v_mul_f64 v[170:171], v[238:239], s[22:23]
	v_add_f64 v[58:59], v[66:67], v[58:59]
	v_fma_f64 v[66:67], v[14:15], s[40:41], -v[166:167]
	v_add_f64 v[56:57], v[62:63], v[56:57]
	v_add_f64 v[70:71], v[70:71], v[82:83]
	v_mul_f64 v[62:63], v[18:19], s[50:51]
	v_mul_f64 v[166:167], v[234:235], s[28:29]
	v_add_f64 v[170:171], v[220:221], -v[170:171]
	v_add_f64 v[48:49], v[66:67], v[48:49]
	v_fma_f64 v[66:67], v[116:117], s[20:21], v[76:77]
	v_add_f64 v[30:31], v[170:171], v[30:31]
	v_add_f64 v[50:51], v[66:67], v[50:51]
	v_mul_f64 v[66:67], v[230:231], s[48:49]
	v_fma_f64 v[72:73], v[232:233], s[34:35], -v[66:67]
	v_fma_f64 v[66:67], v[232:233], s[34:35], v[66:67]
	v_add_f64 v[70:71], v[72:73], v[70:71]
	v_fma_f64 v[72:73], v[16:17], s[40:41], v[62:63]
	v_fma_f64 v[62:63], v[16:17], s[40:41], -v[62:63]
	v_add_f64 v[54:55], v[72:73], v[54:55]
	v_mul_f64 v[72:73], v[242:243], s[24:25]
	v_add_f64 v[52:53], v[62:63], v[52:53]
	v_fma_f64 v[62:63], v[244:245], s[16:17], v[72:73]
	v_fma_f64 v[74:75], v[244:245], s[16:17], -v[72:73]
	v_add_f64 v[60:61], v[62:63], v[60:61]
	v_mul_f64 v[62:63], v[2:3], s[42:43]
	v_add_f64 v[64:65], v[74:75], v[64:65]
	v_fma_f64 v[72:73], v[118:119], s[10:11], v[62:63]
	v_fma_f64 v[62:63], v[118:119], s[10:11], -v[62:63]
	v_add_f64 v[58:59], v[72:73], v[58:59]
	v_fma_f64 v[72:73], v[6:7], s[8:9], v[164:165]
	v_add_f64 v[56:57], v[62:63], v[56:57]
	v_mul_f64 v[62:63], v[24:25], s[54:55]
	v_add_f64 v[50:51], v[72:73], v[50:51]
	v_mul_f64 v[72:73], v[242:243], s[42:43]
	v_fma_f64 v[74:75], v[244:245], s[10:11], -v[72:73]
	v_fma_f64 v[72:73], v[244:245], s[10:11], v[72:73]
	v_add_f64 v[70:71], v[74:75], v[70:71]
	v_fma_f64 v[74:75], v[22:23], s[20:21], v[62:63]
	v_fma_f64 v[62:63], v[22:23], s[20:21], -v[62:63]
	v_add_f64 v[54:55], v[74:75], v[54:55]
	v_mul_f64 v[74:75], v[253:254], s[50:51]
	v_add_f64 v[52:53], v[62:63], v[52:53]
	v_fma_f64 v[62:63], v[116:117], s[40:41], v[74:75]
	v_fma_f64 v[76:77], v[116:117], s[40:41], -v[74:75]
	v_add_f64 v[60:61], v[62:63], v[60:61]
	v_mul_f64 v[62:63], v[18:19], s[24:25]
	;; [unrolled: 5-line block ×3, first 2 shown]
	v_add_f64 v[56:57], v[62:63], v[56:57]
	v_fma_f64 v[62:63], v[4:5], s[40:41], v[168:169]
	v_fma_f64 v[168:169], v[228:229], s[26:27], -v[166:167]
	v_fma_f64 v[166:167], v[228:229], s[26:27], v[166:167]
	v_fma_f64 v[76:77], v[116:117], s[16:17], -v[74:75]
	v_add_f64 v[50:51], v[62:63], v[50:51]
	v_mul_f64 v[62:63], v[20:21], s[2:3]
	v_add_f64 v[168:169], v[168:169], v[188:189]
	v_mul_f64 v[188:189], v[228:229], s[20:21]
	;; [unrolled: 2-line block ×3, first 2 shown]
	v_add_f64 v[70:71], v[76:77], v[70:71]
	v_fma_f64 v[76:77], v[14:15], s[10:11], v[62:63]
	v_fma_f64 v[62:63], v[14:15], s[10:11], -v[62:63]
	v_add_f64 v[54:55], v[76:77], v[54:55]
	v_mul_f64 v[76:77], v[8:9], s[54:55]
	v_add_f64 v[52:53], v[62:63], v[52:53]
	v_fma_f64 v[78:79], v[6:7], s[20:21], -v[76:77]
	v_fma_f64 v[62:63], v[6:7], s[20:21], v[76:77]
	v_add_f64 v[64:65], v[78:79], v[64:65]
	v_mul_f64 v[78:79], v[238:239], s[28:29]
	v_add_f64 v[60:61], v[62:63], v[60:61]
	v_mul_f64 v[62:63], v[24:25], s[36:37]
	v_fma_f64 v[80:81], v[240:241], s[26:27], -v[78:79]
	v_fma_f64 v[78:79], v[240:241], s[26:27], v[78:79]
	v_fma_f64 v[76:77], v[22:23], s[30:31], v[62:63]
	v_fma_f64 v[62:63], v[22:23], s[30:31], -v[62:63]
	v_add_f64 v[78:79], v[78:79], v[190:191]
	v_add_f64 v[58:59], v[76:77], v[58:59]
	;; [unrolled: 1-line block ×3, first 2 shown]
	v_mul_f64 v[80:81], v[8:9], s[36:37]
	v_add_f64 v[56:57], v[62:63], v[56:57]
	v_fma_f64 v[62:63], v[228:229], s[40:41], v[68:69]
	v_mul_f64 v[68:69], v[238:239], s[18:19]
	v_mul_f64 v[8:9], v[8:9], s[2:3]
	;; [unrolled: 1-line block ×3, first 2 shown]
	v_fma_f64 v[82:83], v[6:7], s[30:31], -v[80:81]
	v_add_f64 v[62:63], v[62:63], v[192:193]
	v_add_f64 v[194:195], v[194:195], v[226:227]
	;; [unrolled: 1-line block ×3, first 2 shown]
	s_clause 0x3
	buffer_load_dword v82, off, s[60:63], 0 offset:436
	buffer_load_dword v83, off, s[60:63], 0 offset:440
	;; [unrolled: 1-line block ×4, first 2 shown]
	v_add_f64 v[62:63], v[66:67], v[62:63]
	v_add_f64 v[62:63], v[72:73], v[62:63]
	s_waitcnt vmcnt(2)
	v_add_f64 v[68:69], v[82:83], -v[68:69]
	s_waitcnt vmcnt(0)
	v_add_f64 v[188:189], v[188:189], v[190:191]
	s_clause 0x1
	buffer_load_dword v190, off, s[60:63], 0 offset:428
	buffer_load_dword v191, off, s[60:63], 0 offset:432
	v_mul_f64 v[82:83], v[2:3], s[50:51]
	s_mov_b32 s51, 0x3fc7851a
	v_mul_f64 v[158:159], v[236:237], s[50:51]
	v_mul_f64 v[170:171], v[230:231], s[50:51]
	v_add_f64 v[32:33], v[68:69], v[32:33]
	v_mul_f64 v[68:69], v[232:233], s[26:27]
	v_add_f64 v[26:27], v[188:189], v[26:27]
	v_fma_f64 v[164:165], v[246:247], s[40:41], -v[158:159]
	v_fma_f64 v[192:193], v[232:233], s[40:41], -v[170:171]
	v_fma_f64 v[170:171], v[232:233], s[40:41], v[170:171]
	v_fma_f64 v[158:159], v[246:247], s[40:41], v[158:159]
	v_add_f64 v[76:77], v[164:165], v[76:77]
	v_mul_f64 v[164:165], v[228:229], s[8:9]
	v_add_f64 v[34:35], v[170:171], v[34:35]
	v_add_f64 v[164:165], v[164:165], v[218:219]
	;; [unrolled: 1-line block ×4, first 2 shown]
	s_waitcnt vmcnt(0)
	v_add_f64 v[166:167], v[190:191], -v[166:167]
	s_clause 0x3
	buffer_load_dword v190, off, s[60:63], 0 offset:420
	buffer_load_dword v191, off, s[60:63], 0 offset:424
	;; [unrolled: 1-line block ×4, first 2 shown]
	v_add_f64 v[32:33], v[166:167], v[32:33]
	s_clause 0x3
	buffer_load_dword v166, off, s[60:63], 0 offset:396
	buffer_load_dword v167, off, s[60:63], 0 offset:400
	;; [unrolled: 1-line block ×4, first 2 shown]
	s_waitcnt vmcnt(6)
	v_add_f64 v[68:69], v[68:69], v[190:191]
	v_mul_f64 v[190:191], v[236:237], s[24:25]
	s_waitcnt vmcnt(4)
	v_add_f64 v[82:83], v[164:165], -v[82:83]
	v_mul_f64 v[164:165], v[244:245], s[40:41]
	v_add_f64 v[26:27], v[68:69], v[26:27]
	v_add_f64 v[190:191], v[216:217], -v[190:191]
	v_add_f64 v[68:69], v[158:159], v[78:79]
	s_waitcnt vmcnt(2)
	v_add_f64 v[164:165], v[164:165], v[166:167]
	v_mul_f64 v[166:167], v[2:3], s[18:19]
	v_mul_f64 v[2:3], v[2:3], s[48:49]
	v_add_f64 v[158:159], v[192:193], v[168:169]
	v_mul_f64 v[168:169], v[18:19], s[38:39]
	v_add_f64 v[32:33], v[82:83], v[32:33]
	v_mul_f64 v[82:83], v[116:117], s[30:31]
	v_mul_f64 v[78:79], v[242:243], s[48:49]
	v_add_f64 v[30:31], v[190:191], v[30:31]
	s_clause 0x3
	buffer_load_dword v190, off, s[60:63], 0 offset:564
	buffer_load_dword v191, off, s[60:63], 0 offset:568
	;; [unrolled: 1-line block ×4, first 2 shown]
	s_waitcnt vmcnt(4)
	v_add_f64 v[166:167], v[188:189], -v[166:167]
	v_fma_f64 v[66:67], v[118:119], s[34:35], -v[2:3]
	v_fma_f64 v[2:3], v[118:119], s[34:35], v[2:3]
	v_add_f64 v[26:27], v[164:165], v[26:27]
	v_mul_f64 v[188:189], v[244:245], s[20:21]
	v_add_f64 v[82:83], v[82:83], v[224:225]
	v_fma_f64 v[118:119], v[244:245], s[34:35], v[78:79]
	v_fma_f64 v[78:79], v[244:245], s[34:35], -v[78:79]
	v_add_f64 v[30:31], v[166:167], v[30:31]
	v_add_f64 v[66:67], v[66:67], v[76:77]
	v_mul_f64 v[76:77], v[18:19], s[44:45]
	v_mul_f64 v[18:19], v[18:19], s[52:53]
	;; [unrolled: 1-line block ×3, first 2 shown]
	v_add_f64 v[2:3], v[2:3], v[68:69]
	v_fma_f64 v[68:69], v[116:117], s[16:17], v[74:75]
	v_add_f64 v[34:35], v[118:119], v[34:35]
	v_add_f64 v[78:79], v[78:79], v[158:159]
	v_add_f64 v[26:27], v[82:83], v[26:27]
	v_mul_f64 v[82:83], v[10:11], s[52:53]
	v_add_f64 v[76:77], v[222:223], -v[76:77]
	v_fma_f64 v[72:73], v[16:17], s[8:9], -v[18:19]
	v_fma_f64 v[16:17], v[16:17], s[8:9], v[18:19]
	v_mul_f64 v[18:19], v[253:254], s[52:53]
	v_add_f64 v[62:63], v[68:69], v[62:63]
	v_add_f64 v[32:33], v[76:77], v[32:33]
	;; [unrolled: 1-line block ×3, first 2 shown]
	v_mul_f64 v[72:73], v[24:25], s[48:49]
	v_fma_f64 v[74:75], v[116:117], s[8:9], v[18:19]
	v_fma_f64 v[18:19], v[116:117], s[8:9], -v[18:19]
	v_mul_f64 v[76:77], v[6:7], s[34:35]
	v_add_f64 v[2:3], v[16:17], v[2:3]
	v_fma_f64 v[16:17], v[6:7], s[30:31], v[80:81]
	v_add_f64 v[34:35], v[74:75], v[34:35]
	v_add_f64 v[16:17], v[16:17], v[62:63]
	v_mul_f64 v[62:63], v[12:13], s[56:57]
	s_waitcnt vmcnt(2)
	v_add_f64 v[188:189], v[188:189], v[190:191]
	s_waitcnt vmcnt(0)
	v_add_f64 v[168:169], v[170:171], -v[168:169]
	s_clause 0x3
	buffer_load_dword v170, off, s[60:63], 0 offset:532
	buffer_load_dword v171, off, s[60:63], 0 offset:536
	;; [unrolled: 1-line block ×4, first 2 shown]
	v_add_f64 v[28:29], v[188:189], v[28:29]
	v_add_f64 v[30:31], v[168:169], v[30:31]
	s_waitcnt vmcnt(2)
	v_add_f64 v[166:167], v[166:167], v[170:171]
	s_waitcnt vmcnt(0)
	v_add_f64 v[72:73], v[116:117], -v[72:73]
	s_clause 0x5
	buffer_load_dword v116, off, s[60:63], 0 offset:540
	buffer_load_dword v117, off, s[60:63], 0 offset:544
	;; [unrolled: 1-line block ×6, first 2 shown]
	v_add_f64 v[28:29], v[166:167], v[28:29]
	v_add_f64 v[32:33], v[72:73], v[32:33]
	v_fma_f64 v[166:167], v[249:250], s[16:17], v[198:199]
	s_waitcnt vmcnt(4)
	v_add_f64 v[76:77], v[76:77], v[116:117]
	v_mul_f64 v[116:117], v[24:25], s[28:29]
	v_mul_f64 v[24:25], v[24:25], s[2:3]
	v_add_f64 v[26:27], v[76:77], v[26:27]
	s_waitcnt vmcnt(2)
	v_add_f64 v[116:117], v[118:119], -v[116:117]
	v_fma_f64 v[68:69], v[22:23], s[10:11], -v[24:25]
	v_mul_f64 v[118:119], v[6:7], s[26:27]
	v_fma_f64 v[22:23], v[22:23], s[10:11], v[24:25]
	v_fma_f64 v[24:25], v[6:7], s[10:11], v[8:9]
	v_fma_f64 v[6:7], v[6:7], s[10:11], -v[8:9]
	v_add_f64 v[8:9], v[18:19], v[78:79]
	v_add_f64 v[30:31], v[116:117], v[30:31]
	;; [unrolled: 1-line block ×3, first 2 shown]
	s_clause 0x7
	buffer_load_dword v68, off, s[60:63], 0 offset:508
	buffer_load_dword v69, off, s[60:63], 0 offset:512
	;; [unrolled: 1-line block ×8, first 2 shown]
	v_mul_f64 v[66:67], v[20:21], s[46:47]
	v_add_f64 v[24:25], v[24:25], v[34:35]
	v_mul_f64 v[34:35], v[12:13], s[2:3]
	v_mul_f64 v[12:13], v[12:13], s[18:19]
	v_add_f64 v[2:3], v[22:23], v[2:3]
	s_waitcnt vmcnt(8)
	v_add_f64 v[118:119], v[118:119], v[158:159]
	v_add_f64 v[6:7], v[6:7], v[8:9]
	v_mul_f64 v[8:9], v[10:11], s[42:43]
	v_fma_f64 v[22:23], v[4:5], s[10:11], v[34:35]
	v_fma_f64 v[80:81], v[4:5], s[20:21], v[12:13]
	v_add_f64 v[28:29], v[118:119], v[28:29]
	v_mul_f64 v[118:119], v[0:1], s[52:53]
	v_add_f64 v[60:61], v[22:23], v[60:61]
	v_add_f64 v[80:81], v[80:81], v[24:25]
	;; [unrolled: 1-line block ×3, first 2 shown]
	v_fma_f64 v[164:165], v[249:250], s[8:9], v[118:119]
	v_fma_f64 v[118:119], v[249:250], s[8:9], -v[118:119]
	s_waitcnt vmcnt(6)
	v_add_f64 v[66:67], v[68:69], -v[66:67]
	v_mul_f64 v[68:69], v[4:5], s[16:17]
	v_add_f64 v[32:33], v[66:67], v[32:33]
	s_waitcnt vmcnt(4)
	v_add_f64 v[68:69], v[68:69], v[72:73]
	v_mul_f64 v[72:73], v[20:21], s[36:37]
	v_add_f64 v[68:69], v[68:69], v[26:27]
	s_waitcnt vmcnt(2)
	v_add_f64 v[72:73], v[74:75], -v[72:73]
	v_mul_f64 v[74:75], v[4:5], s[30:31]
	v_fma_f64 v[26:27], v[251:252], s[16:17], -v[196:197]
	v_add_f64 v[30:31], v[72:73], v[30:31]
	s_waitcnt vmcnt(0)
	v_add_f64 v[74:75], v[74:75], v[78:79]
	v_mul_f64 v[78:79], v[20:21], s[56:57]
	v_mul_f64 v[20:21], v[20:21], s[18:19]
	;; [unrolled: 1-line block ×4, first 2 shown]
	v_add_f64 v[28:29], v[74:75], v[28:29]
	v_fma_f64 v[76:77], v[14:15], s[26:27], -v[78:79]
	v_fma_f64 v[78:79], v[14:15], s[26:27], v[78:79]
	v_fma_f64 v[170:171], v[249:250], s[26:27], -v[0:1]
	v_add_f64 v[56:57], v[76:77], v[56:57]
	v_fma_f64 v[76:77], v[14:15], s[20:21], -v[20:21]
	v_fma_f64 v[14:15], v[14:15], s[20:21], v[20:21]
	v_fma_f64 v[20:21], v[4:5], s[10:11], -v[34:35]
	v_fma_f64 v[34:35], v[4:5], s[26:27], -v[62:63]
	v_fma_f64 v[62:63], v[4:5], s[26:27], v[62:63]
	v_fma_f64 v[4:5], v[4:5], s[20:21], -v[12:13]
	v_add_f64 v[58:59], v[78:79], v[58:59]
	v_fma_f64 v[78:79], v[249:250], s[30:31], v[72:73]
	v_fma_f64 v[72:73], v[249:250], s[30:31], -v[72:73]
	v_add_f64 v[12:13], v[76:77], v[18:19]
	s_clause 0x5
	buffer_load_dword v76, off, s[60:63], 0 offset:476
	buffer_load_dword v77, off, s[60:63], 0 offset:480
	;; [unrolled: 1-line block ×6, first 2 shown]
	v_add_f64 v[190:191], v[14:15], v[2:3]
	v_add_f64 v[2:3], v[26:27], v[48:49]
	;; [unrolled: 1-line block ×3, first 2 shown]
	v_mul_f64 v[18:19], v[249:250], s[10:11]
	v_add_f64 v[62:63], v[62:63], v[16:17]
	v_add_f64 v[70:71], v[34:35], v[70:71]
	v_fma_f64 v[34:35], v[249:250], s[26:27], v[0:1]
	v_add_f64 v[64:65], v[20:21], v[64:65]
	v_add_f64 v[192:193], v[4:5], v[6:7]
	;; [unrolled: 1-line block ×3, first 2 shown]
	v_mov_b32_e32 v49, 4
	v_add_f64 v[4:5], v[34:35], v[60:61]
	s_waitcnt vmcnt(4)
	v_add_f64 v[8:9], v[76:77], -v[8:9]
	v_mul_f64 v[76:77], v[249:250], s[40:41]
	s_waitcnt vmcnt(0)
	v_add_f64 v[116:117], v[116:117], -v[156:157]
	s_clause 0x2
	buffer_load_dword v156, off, s[60:63], 0 offset:468
	buffer_load_dword v157, off, s[60:63], 0 offset:472
	;; [unrolled: 1-line block ×3, first 2 shown]
	v_add_f64 v[66:67], v[18:19], v[66:67]
	v_mul_f64 v[18:19], v[10:11], s[28:29]
	v_mul_f64 v[10:11], v[10:11], s[36:37]
	v_add_f64 v[22:23], v[116:117], v[30:31]
	v_add_f64 v[16:17], v[66:67], v[68:69]
	v_fma_f64 v[74:75], v[251:252], s[26:27], -v[18:19]
	v_fma_f64 v[158:159], v[251:252], s[30:31], -v[10:11]
	v_fma_f64 v[168:169], v[251:252], s[26:27], v[18:19]
	v_fma_f64 v[188:189], v[251:252], s[30:31], v[10:11]
	v_add_f64 v[18:19], v[8:9], v[32:33]
	v_add_f64 v[8:9], v[164:165], v[62:63]
	;; [unrolled: 1-line block ×8, first 2 shown]
	s_waitcnt vmcnt(1)
	v_add_f64 v[76:77], v[76:77], v[156:157]
	v_fma_f64 v[156:157], v[251:252], s[8:9], -v[82:83]
	v_fma_f64 v[82:83], v[251:252], s[8:9], v[82:83]
	s_waitcnt vmcnt(0)
	v_mul_lo_u16 v48, v44, 17
	v_add_f64 v[44:45], v[72:73], v[192:193]
	v_lshlrev_b32_sdwa v48, v49, v48 dst_sel:DWORD dst_unused:UNUSED_PAD src0_sel:DWORD src1_sel:WORD_0
	v_add_f64 v[20:21], v[76:77], v[28:29]
	v_add_f64 v[10:11], v[156:157], v[56:57]
	;; [unrolled: 1-line block ×4, first 2 shown]
	ds_write_b128 v48, v[24:27]
	ds_write_b128 v48, v[20:23] offset:16
	ds_write_b128 v48, v[16:19] offset:32
	;; [unrolled: 1-line block ×16, first 2 shown]
.LBB0_17:
	s_or_b32 exec_lo, exec_lo, s1
	s_waitcnt lgkmcnt(0)
	s_waitcnt_vscnt null, 0x0
	s_barrier
	buffer_gl0_inv
	ds_read_b128 v[0:3], v248 offset:8160
	ds_read_b128 v[4:7], v248 offset:16320
	;; [unrolled: 1-line block ×7, first 2 shown]
	ds_read_b128 v[28:31], v248
	ds_read_b128 v[32:35], v248 offset:1632
	ds_read_b128 v[36:39], v248 offset:21216
	;; [unrolled: 1-line block ×5, first 2 shown]
	s_clause 0x7
	buffer_load_dword v192, off, s[60:63], 0 offset:128
	buffer_load_dword v193, off, s[60:63], 0 offset:132
	;; [unrolled: 1-line block ×8, first 2 shown]
	s_mov_b32 s2, 0xe8584caa
	s_mov_b32 s3, 0xbfebb67a
	;; [unrolled: 1-line block ×4, first 2 shown]
	s_waitcnt vmcnt(4) lgkmcnt(12)
	v_mul_f64 v[64:65], v[194:195], v[0:1]
	s_waitcnt vmcnt(0) lgkmcnt(11)
	v_mul_f64 v[62:63], v[198:199], v[6:7]
	v_mul_f64 v[66:67], v[198:199], v[4:5]
	s_clause 0x7
	buffer_load_dword v198, off, s[60:63], 0 offset:160
	buffer_load_dword v199, off, s[60:63], 0 offset:164
	buffer_load_dword v200, off, s[60:63], 0 offset:168
	buffer_load_dword v201, off, s[60:63], 0 offset:172
	buffer_load_dword v202, off, s[60:63], 0 offset:176
	buffer_load_dword v203, off, s[60:63], 0 offset:180
	buffer_load_dword v204, off, s[60:63], 0 offset:184
	buffer_load_dword v205, off, s[60:63], 0 offset:188
	ds_read_b128 v[52:55], v248 offset:3264
	ds_read_b128 v[56:59], v248 offset:4896
	s_clause 0x7
	buffer_load_dword v170, off, s[60:63], 0 offset:64
	buffer_load_dword v171, off, s[60:63], 0 offset:68
	;; [unrolled: 1-line block ×8, first 2 shown]
	v_mul_f64 v[60:61], v[194:195], v[2:3]
	v_fma_f64 v[2:3], v[192:193], v[2:3], -v[64:65]
	v_fma_f64 v[4:5], v[196:197], v[4:5], v[62:63]
	v_fma_f64 v[6:7], v[196:197], v[6:7], -v[66:67]
	v_fma_f64 v[0:1], v[192:193], v[0:1], v[60:61]
	s_waitcnt vmcnt(12) lgkmcnt(12)
	v_mul_f64 v[72:73], v[200:201], v[8:9]
	v_mul_f64 v[68:69], v[200:201], v[10:11]
	s_waitcnt vmcnt(8) lgkmcnt(11)
	v_mul_f64 v[74:75], v[204:205], v[12:13]
	s_waitcnt vmcnt(4) lgkmcnt(10)
	;; [unrolled: 2-line block ×3, first 2 shown]
	v_mul_f64 v[78:79], v[166:167], v[22:23]
	v_mul_f64 v[80:81], v[172:173], v[16:17]
	;; [unrolled: 1-line block ×3, first 2 shown]
	s_clause 0xf
	buffer_load_dword v172, off, s[60:63], 0 offset:80
	buffer_load_dword v173, off, s[60:63], 0 offset:84
	;; [unrolled: 1-line block ×16, first 2 shown]
	v_mul_f64 v[70:71], v[204:205], v[14:15]
	s_waitcnt vmcnt(0) lgkmcnt(0)
	s_barrier
	buffer_gl0_inv
	v_fma_f64 v[10:11], v[198:199], v[10:11], -v[72:73]
	v_fma_f64 v[8:9], v[198:199], v[8:9], v[68:69]
	v_fma_f64 v[60:61], v[202:203], v[14:15], -v[74:75]
	v_add_f64 v[68:69], v[2:3], -v[6:7]
	v_fma_f64 v[20:21], v[164:165], v[20:21], v[78:79]
	v_fma_f64 v[14:15], v[170:171], v[16:17], v[76:77]
	v_fma_f64 v[16:17], v[170:171], v[18:19], -v[80:81]
	v_fma_f64 v[22:23], v[164:165], v[22:23], -v[82:83]
	v_add_f64 v[72:73], v[0:1], -v[4:5]
	v_fma_f64 v[12:13], v[202:203], v[12:13], v[70:71]
	v_add_f64 v[78:79], v[34:35], v[10:11]
	v_add_f64 v[74:75], v[32:33], v[8:9]
	;; [unrolled: 1-line block ×3, first 2 shown]
	v_add_f64 v[76:77], v[10:11], -v[60:61]
	v_add_f64 v[82:83], v[52:53], v[14:15]
	v_add_f64 v[10:11], v[16:17], v[22:23]
	v_add_f64 v[80:81], v[8:9], -v[12:13]
	v_fma_f64 v[34:35], v[70:71], -0.5, v[34:35]
	v_mul_f64 v[116:117], v[174:175], v[26:27]
	v_mul_f64 v[154:155], v[168:169], v[36:37]
	;; [unrolled: 1-line block ×8, first 2 shown]
	v_fma_f64 v[18:19], v[172:173], v[24:25], v[116:117]
	v_fma_f64 v[62:63], v[166:167], v[38:39], -v[154:155]
	v_fma_f64 v[38:39], v[188:189], v[46:47], -v[158:159]
	v_add_f64 v[46:47], v[2:3], v[6:7]
	v_add_f64 v[2:3], v[30:31], v[2:3]
	v_fma_f64 v[24:25], v[172:173], v[26:27], -v[118:119]
	v_fma_f64 v[26:27], v[166:167], v[36:37], v[152:153]
	v_fma_f64 v[36:37], v[188:189], v[44:45], v[156:157]
	v_add_f64 v[44:45], v[0:1], v[4:5]
	v_fma_f64 v[64:65], v[184:185], v[48:49], v[160:161]
	v_add_f64 v[48:49], v[28:29], v[0:1]
	v_add_f64 v[0:1], v[14:15], v[20:21]
	v_fma_f64 v[66:67], v[184:185], v[50:51], -v[162:163]
	v_add_f64 v[50:51], v[8:9], v[12:13]
	v_add_f64 v[156:157], v[14:15], -v[20:21]
	v_add_f64 v[118:119], v[54:55], v[16:17]
	v_add_f64 v[116:117], v[16:17], -v[22:23]
	v_add_f64 v[162:163], v[42:43], v[38:39]
	v_fma_f64 v[14:15], v[46:47], -0.5, v[30:31]
	v_add_f64 v[2:3], v[2:3], v[6:7]
	v_add_f64 v[6:7], v[78:79], v[60:61]
	buffer_load_dword v60, off, s[60:63], 0 offset:192 ; 4-byte Folded Reload
	v_add_f64 v[8:9], v[18:19], v[26:27]
	v_fma_f64 v[28:29], v[44:45], -0.5, v[28:29]
	v_fma_f64 v[46:47], v[10:11], -0.5, v[54:55]
	v_add_f64 v[16:17], v[24:25], v[62:63]
	v_fma_f64 v[44:45], v[0:1], -0.5, v[52:53]
	v_add_f64 v[0:1], v[48:49], v[4:5]
	v_add_f64 v[4:5], v[74:75], v[12:13]
	v_fma_f64 v[32:33], v[50:51], -0.5, v[32:33]
	v_add_f64 v[30:31], v[56:57], v[18:19]
	v_add_f64 v[50:51], v[24:25], -v[62:63]
	v_add_f64 v[24:25], v[58:59], v[24:25]
	v_add_f64 v[70:71], v[18:19], -v[26:27]
	v_fma_f64 v[18:19], v[80:81], s[8:9], v[34:35]
	v_fma_f64 v[34:35], v[80:81], s[2:3], v[34:35]
	v_add_f64 v[152:153], v[36:37], v[64:65]
	v_add_f64 v[154:155], v[38:39], v[66:67]
	;; [unrolled: 1-line block ×3, first 2 shown]
	v_add_f64 v[160:161], v[38:39], -v[66:67]
	v_fma_f64 v[10:11], v[72:73], s[8:9], v[14:15]
	v_fma_f64 v[14:15], v[72:73], s[2:3], v[14:15]
	v_add_f64 v[164:165], v[36:37], -v[64:65]
	v_add_f64 v[36:37], v[82:83], v[20:21]
	v_fma_f64 v[54:55], v[8:9], -0.5, v[56:57]
	v_fma_f64 v[8:9], v[68:69], s[2:3], v[28:29]
	v_fma_f64 v[12:13], v[68:69], s[8:9], v[28:29]
	v_fma_f64 v[58:59], v[16:17], -0.5, v[58:59]
	v_add_f64 v[38:39], v[118:119], v[22:23]
	v_add_f64 v[22:23], v[162:163], v[66:67]
	s_waitcnt vmcnt(0)
	ds_write_b128 v60, v[0:3]
	ds_write_b128 v60, v[8:11] offset:272
	ds_write_b128 v60, v[12:15] offset:544
	buffer_load_dword v0, off, s[60:63], 0 offset:304 ; 4-byte Folded Reload
	v_fma_f64 v[16:17], v[76:77], s[2:3], v[32:33]
	v_fma_f64 v[32:33], v[76:77], s[8:9], v[32:33]
	v_fma_f64 v[74:75], v[152:153], -0.5, v[40:41]
	v_fma_f64 v[152:153], v[154:155], -0.5, v[42:43]
	v_fma_f64 v[40:41], v[116:117], s[2:3], v[44:45]
	v_fma_f64 v[42:43], v[156:157], s[8:9], v[46:47]
	;; [unrolled: 1-line block ×4, first 2 shown]
	v_add_f64 v[48:49], v[30:31], v[26:27]
	v_fma_f64 v[52:53], v[50:51], s[2:3], v[54:55]
	v_fma_f64 v[56:57], v[50:51], s[8:9], v[54:55]
	v_add_f64 v[50:51], v[24:25], v[62:63]
	v_fma_f64 v[54:55], v[70:71], s[8:9], v[58:59]
	v_fma_f64 v[58:59], v[70:71], s[2:3], v[58:59]
	v_add_f64 v[20:21], v[158:159], v[64:65]
	s_waitcnt vmcnt(0)
	ds_write_b128 v0, v[4:7]
	ds_write_b128 v0, v[16:19] offset:272
	ds_write_b128 v0, v[32:35] offset:544
	buffer_load_dword v0, off, s[60:63], 0 offset:220 ; 4-byte Folded Reload
	v_fma_f64 v[24:25], v[160:161], s[2:3], v[74:75]
	v_fma_f64 v[26:27], v[164:165], s[8:9], v[152:153]
	;; [unrolled: 1-line block ×4, first 2 shown]
	s_waitcnt vmcnt(0)
	ds_write_b128 v0, v[36:39]
	ds_write_b128 v0, v[40:43] offset:272
	ds_write_b128 v0, v[44:47] offset:544
	buffer_load_dword v0, off, s[60:63], 0 offset:200 ; 4-byte Folded Reload
	s_waitcnt vmcnt(0)
	ds_write_b128 v0, v[48:51]
	ds_write_b128 v0, v[52:55] offset:272
	ds_write_b128 v0, v[56:59] offset:544
	buffer_load_dword v0, off, s[60:63], 0 offset:196 ; 4-byte Folded Reload
	s_waitcnt vmcnt(0)
	ds_write_b128 v0, v[20:23]
	ds_write_b128 v0, v[24:27] offset:272
	ds_write_b128 v0, v[28:31] offset:544
	s_waitcnt lgkmcnt(0)
	s_barrier
	buffer_gl0_inv
	ds_read_b128 v[36:39], v248
	ds_read_b128 v[32:35], v248 offset:1632
	ds_read_b128 v[48:51], v248 offset:4080
	;; [unrolled: 1-line block ×11, first 2 shown]
	s_and_saveexec_b32 s1, s0
	s_cbranch_execz .LBB0_19
; %bb.18:
	ds_read_b128 v[20:23], v248 offset:3264
	ds_read_b128 v[24:27], v248 offset:7344
	;; [unrolled: 1-line block ×6, first 2 shown]
	s_waitcnt lgkmcnt(0)
	buffer_store_dword v0, off, s[60:63], 0 offset:12 ; 4-byte Folded Spill
	buffer_store_dword v1, off, s[60:63], 0 offset:16 ; 4-byte Folded Spill
	;; [unrolled: 1-line block ×4, first 2 shown]
.LBB0_19:
	s_or_b32 exec_lo, exec_lo, s1
	s_waitcnt lgkmcnt(1)
	v_mul_f64 v[2:3], v[98:99], v[168:169]
	s_clause 0x3
	buffer_load_dword v116, off, s[60:63], 0 offset:224
	buffer_load_dword v117, off, s[60:63], 0 offset:228
	;; [unrolled: 1-line block ×4, first 2 shown]
	v_mul_f64 v[12:13], v[98:99], v[170:171]
	s_clause 0x3
	buffer_load_dword v80, off, s[60:63], 0 offset:204
	buffer_load_dword v81, off, s[60:63], 0 offset:208
	;; [unrolled: 1-line block ×4, first 2 shown]
	v_mul_f64 v[0:1], v[94:95], v[164:165]
	v_mul_f64 v[10:11], v[94:95], v[166:167]
	s_waitcnt lgkmcnt(0)
	v_mul_f64 v[6:7], v[90:91], v[160:161]
	v_mul_f64 v[18:19], v[90:91], v[162:163]
	;; [unrolled: 1-line block ×4, first 2 shown]
	v_fma_f64 v[2:3], v[96:97], v[170:171], -v[2:3]
	s_clause 0x3
	buffer_load_dword v170, off, s[60:63], 0 offset:240
	buffer_load_dword v171, off, s[60:63], 0 offset:244
	;; [unrolled: 1-line block ×4, first 2 shown]
	v_fma_f64 v[12:13], v[96:97], v[168:169], v[12:13]
	v_fma_f64 v[0:1], v[92:93], v[166:167], -v[0:1]
	v_fma_f64 v[10:11], v[92:93], v[164:165], v[10:11]
	v_fma_f64 v[6:7], v[88:89], v[162:163], -v[6:7]
	;; [unrolled: 2-line block ×3, first 2 shown]
	v_fma_f64 v[16:17], v[84:85], v[156:157], v[16:17]
	v_add_f64 v[84:85], v[4:5], -v[6:7]
	s_waitcnt vmcnt(8)
	v_mul_f64 v[8:9], v[118:119], v[48:49]
	v_mul_f64 v[68:69], v[118:119], v[50:51]
	s_waitcnt vmcnt(4)
	v_mul_f64 v[14:15], v[82:83], v[40:41]
	v_mul_f64 v[70:71], v[82:83], v[42:43]
	;; [unrolled: 3-line block ×3, first 2 shown]
	s_clause 0x7
	buffer_load_dword v172, off, s[60:63], 0 offset:272
	buffer_load_dword v173, off, s[60:63], 0 offset:276
	;; [unrolled: 1-line block ×8, first 2 shown]
	v_fma_f64 v[8:9], v[116:117], v[50:51], -v[8:9]
	v_add_f64 v[50:51], v[0:1], v[2:3]
	v_fma_f64 v[14:15], v[80:81], v[42:43], -v[14:15]
	v_add_f64 v[42:43], v[4:5], v[6:7]
	v_fma_f64 v[48:49], v[116:117], v[48:49], v[68:69]
	v_fma_f64 v[40:41], v[80:81], v[40:41], v[70:71]
	v_add_f64 v[68:69], v[16:17], v[18:19]
	v_add_f64 v[70:71], v[16:17], -v[18:19]
	v_add_f64 v[80:81], v[0:1], -v[2:3]
	v_fma_f64 v[56:57], v[170:171], v[56:57], v[60:61]
	v_fma_f64 v[58:59], v[170:171], v[58:59], -v[62:63]
	v_add_f64 v[0:1], v[8:9], v[0:1]
	v_fma_f64 v[50:51], v[50:51], -0.5, v[8:9]
	v_add_f64 v[4:5], v[14:15], v[4:5]
	v_fma_f64 v[42:43], v[42:43], -0.5, v[14:15]
	;; [unrolled: 2-line block ×3, first 2 shown]
	v_fma_f64 v[8:9], v[70:71], s[8:9], v[42:43]
	v_fma_f64 v[42:43], v[70:71], s[2:3], v[42:43]
	v_add_f64 v[16:17], v[16:17], v[18:19]
	v_add_f64 v[18:19], v[4:5], v[6:7]
	s_waitcnt vmcnt(4)
	v_mul_f64 v[64:65], v[174:175], v[154:155]
	s_waitcnt vmcnt(0)
	v_mul_f64 v[72:73], v[92:93], v[46:47]
	v_mul_f64 v[74:75], v[92:93], v[44:45]
	s_clause 0x3
	buffer_load_dword v92, off, s[60:63], 0 offset:288
	buffer_load_dword v93, off, s[60:63], 0 offset:292
	;; [unrolled: 1-line block ×4, first 2 shown]
	v_mul_f64 v[66:67], v[174:175], v[152:153]
	s_waitcnt vmcnt(0)
	s_waitcnt_vscnt null, 0x0
	s_barrier
	buffer_gl0_inv
	v_fma_f64 v[60:61], v[172:173], v[152:153], v[64:65]
	v_add_f64 v[64:65], v[10:11], v[12:13]
	v_fma_f64 v[44:45], v[90:91], v[44:45], v[72:73]
	v_fma_f64 v[46:47], v[90:91], v[46:47], -v[74:75]
	v_fma_f64 v[62:63], v[172:173], v[154:155], -v[66:67]
	v_add_f64 v[66:67], v[10:11], -v[12:13]
	v_add_f64 v[72:73], v[36:37], v[56:57]
	v_add_f64 v[10:11], v[48:49], v[10:11]
	v_add_f64 v[74:75], v[56:57], v[60:61]
	v_fma_f64 v[64:65], v[64:65], -0.5, v[48:49]
	v_add_f64 v[56:57], v[56:57], -v[60:61]
	v_add_f64 v[70:71], v[32:33], v[44:45]
	v_fma_f64 v[82:83], v[66:67], s[8:9], v[50:51]
	v_fma_f64 v[50:51], v[66:67], s[2:3], v[50:51]
	v_add_f64 v[14:15], v[72:73], v[60:61]
	v_add_f64 v[10:11], v[10:11], v[12:13]
	;; [unrolled: 1-line block ×3, first 2 shown]
	v_fma_f64 v[36:37], v[74:75], -0.5, v[36:37]
	v_fma_f64 v[60:61], v[80:81], s[8:9], v[64:65]
	v_mul_f64 v[74:75], v[42:43], s[2:3]
	v_mul_f64 v[42:43], v[42:43], -0.5
	v_mul_f64 v[72:73], v[82:83], 0.5
	v_add_f64 v[0:1], v[14:15], v[10:11]
	v_add_f64 v[4:5], v[14:15], -v[10:11]
	v_mul_f64 v[76:77], v[94:95], v[54:55]
	v_mul_f64 v[78:79], v[94:95], v[52:53]
	v_fma_f64 v[52:53], v[92:93], v[52:53], v[76:77]
	v_fma_f64 v[54:55], v[92:93], v[54:55], -v[78:79]
	v_add_f64 v[76:77], v[58:59], -v[62:63]
	v_add_f64 v[78:79], v[38:39], v[58:59]
	v_add_f64 v[58:59], v[58:59], v[62:63]
	;; [unrolled: 1-line block ×4, first 2 shown]
	v_add_f64 v[86:87], v[46:47], -v[54:55]
	v_add_f64 v[46:47], v[34:35], v[46:47]
	v_fma_f64 v[38:39], v[58:59], -0.5, v[38:39]
	v_fma_f64 v[58:59], v[80:81], s[2:3], v[64:65]
	v_mul_f64 v[64:65], v[50:51], s[2:3]
	v_mul_f64 v[50:51], v[50:51], -0.5
	v_add_f64 v[44:45], v[44:45], -v[52:53]
	v_add_f64 v[40:41], v[78:79], v[62:63]
	v_mul_f64 v[62:63], v[82:83], s[2:3]
	v_add_f64 v[52:53], v[70:71], v[52:53]
	v_fma_f64 v[70:71], v[76:77], s[8:9], v[36:37]
	v_fma_f64 v[32:33], v[48:49], -0.5, v[32:33]
	v_fma_f64 v[34:35], v[66:67], -0.5, v[34:35]
	v_fma_f64 v[48:49], v[84:85], s[2:3], v[68:69]
	v_fma_f64 v[66:67], v[84:85], s[8:9], v[68:69]
	v_mul_f64 v[68:69], v[8:9], s[2:3]
	v_mul_f64 v[8:9], v[8:9], 0.5
	v_add_f64 v[46:47], v[46:47], v[54:55]
	v_fma_f64 v[54:55], v[76:77], s[2:3], v[36:37]
	v_fma_f64 v[76:77], v[56:57], s[8:9], v[38:39]
	;; [unrolled: 1-line block ×3, first 2 shown]
	v_fma_f64 v[38:39], v[60:61], -0.5, v[64:65]
	v_fma_f64 v[50:51], v[60:61], s[8:9], v[50:51]
	v_fma_f64 v[36:37], v[58:59], 0.5, v[62:63]
	v_fma_f64 v[58:59], v[58:59], s[8:9], v[72:73]
	v_add_f64 v[2:3], v[40:41], v[12:13]
	v_add_f64 v[6:7], v[40:41], -v[12:13]
	v_add_f64 v[12:13], v[52:53], -v[16:17]
	v_fma_f64 v[60:61], v[86:87], s[2:3], v[32:33]
	v_fma_f64 v[64:65], v[44:45], s[8:9], v[34:35]
	;; [unrolled: 1-line block ×4, first 2 shown]
	v_fma_f64 v[68:69], v[48:49], 0.5, v[68:69]
	v_fma_f64 v[78:79], v[48:49], s[8:9], v[8:9]
	v_add_f64 v[8:9], v[52:53], v[16:17]
	v_add_f64 v[10:11], v[46:47], v[18:19]
	v_add_f64 v[14:15], v[46:47], -v[18:19]
	v_fma_f64 v[74:75], v[66:67], -0.5, v[74:75]
	v_add_f64 v[32:33], v[70:71], v[38:39]
	v_add_f64 v[34:35], v[56:57], v[50:51]
	;; [unrolled: 1-line block ×4, first 2 shown]
	v_add_f64 v[36:37], v[54:55], -v[36:37]
	v_add_f64 v[40:41], v[70:71], -v[38:39]
	;; [unrolled: 1-line block ×3, first 2 shown]
	v_fma_f64 v[66:67], v[66:67], s[8:9], v[42:43]
	v_add_f64 v[42:43], v[56:57], -v[50:51]
	v_add_f64 v[44:45], v[60:61], v[68:69]
	v_add_f64 v[52:53], v[60:61], -v[68:69]
	buffer_load_dword v60, off, s[60:63], 0 offset:312 ; 4-byte Folded Reload
	v_add_f64 v[46:47], v[64:65], v[78:79]
	v_add_f64 v[54:55], v[64:65], -v[78:79]
	v_add_f64 v[48:49], v[62:63], v[74:75]
	v_add_f64 v[56:57], v[62:63], -v[74:75]
	s_waitcnt vmcnt(0)
	ds_write_b128 v60, v[0:3]
	ds_write_b128 v60, v[4:7] offset:2448
	ds_write_b128 v60, v[16:19] offset:816
	;; [unrolled: 1-line block ×5, first 2 shown]
	buffer_load_dword v0, off, s[60:63], 0 offset:308 ; 4-byte Folded Reload
	v_add_f64 v[50:51], v[72:73], v[66:67]
	v_add_f64 v[58:59], v[72:73], -v[66:67]
	s_waitcnt vmcnt(0)
	ds_write_b128 v0, v[8:11]
	ds_write_b128 v0, v[44:47] offset:816
	ds_write_b128 v0, v[48:51] offset:1632
	;; [unrolled: 1-line block ×5, first 2 shown]
	s_mov_b32 s1, exec_lo
	buffer_load_dword v118, off, s[60:63], 0 offset:8 ; 4-byte Folded Reload
	s_and_b32 s0, s1, s0
	s_mov_b32 exec_lo, s0
	s_cbranch_execz .LBB0_21
; %bb.20:
	s_clause 0x17
	buffer_load_dword v16, off, s[60:63], 0 offset:364
	buffer_load_dword v17, off, s[60:63], 0 offset:368
	;; [unrolled: 1-line block ×24, first 2 shown]
	s_mov_b32 s8, s2
	s_waitcnt vmcnt(20)
	v_mul_f64 v[0:1], v[18:19], v[180:181]
	s_waitcnt vmcnt(14)
	v_mul_f64 v[2:3], v[46:47], v[48:49]
	v_mul_f64 v[4:5], v[18:19], v[182:183]
	s_waitcnt vmcnt(12)
	v_mul_f64 v[6:7], v[46:47], v[50:51]
	s_waitcnt vmcnt(8)
	;; [unrolled: 2-line block ×4, first 2 shown]
	v_mul_f64 v[12:13], v[38:39], v[176:177]
	v_mul_f64 v[14:15], v[42:43], v[26:27]
	;; [unrolled: 1-line block ×3, first 2 shown]
	v_fma_f64 v[0:1], v[16:17], v[182:183], -v[0:1]
	v_fma_f64 v[2:3], v[44:45], v[50:51], -v[2:3]
	v_fma_f64 v[4:5], v[16:17], v[180:181], v[4:5]
	v_fma_f64 v[6:7], v[44:45], v[48:49], v[6:7]
	v_fma_f64 v[8:9], v[40:41], v[26:27], -v[8:9]
	v_mul_f64 v[26:27], v[38:39], v[178:179]
	v_fma_f64 v[10:11], v[32:33], v[30:31], -v[10:11]
	v_fma_f64 v[12:13], v[36:37], v[178:179], -v[12:13]
	v_fma_f64 v[14:15], v[40:41], v[24:25], v[14:15]
	v_fma_f64 v[18:19], v[32:33], v[28:29], v[18:19]
	v_add_f64 v[16:17], v[0:1], v[2:3]
	v_add_f64 v[32:33], v[0:1], -v[2:3]
	v_add_f64 v[24:25], v[4:5], v[6:7]
	v_add_f64 v[30:31], v[4:5], -v[6:7]
	v_fma_f64 v[26:27], v[36:37], v[176:177], v[26:27]
	v_add_f64 v[38:39], v[22:23], v[10:11]
	v_add_f64 v[28:29], v[10:11], v[12:13]
	;; [unrolled: 1-line block ×4, first 2 shown]
	v_fma_f64 v[16:17], v[16:17], -0.5, v[8:9]
	v_add_f64 v[8:9], v[10:11], -v[12:13]
	v_fma_f64 v[24:25], v[24:25], -0.5, v[14:15]
	v_add_f64 v[10:11], v[20:21], v[18:19]
	v_add_f64 v[36:37], v[18:19], -v[26:27]
	v_add_f64 v[12:13], v[38:39], v[12:13]
	v_fma_f64 v[14:15], v[28:29], -0.5, v[22:23]
	v_add_f64 v[4:5], v[4:5], v[6:7]
	v_fma_f64 v[34:35], v[30:31], s[2:3], v[16:17]
	v_fma_f64 v[16:17], v[30:31], s[8:9], v[16:17]
	v_add_f64 v[30:31], v[18:19], v[26:27]
	v_fma_f64 v[18:19], v[32:33], s[8:9], v[24:25]
	v_fma_f64 v[22:23], v[32:33], s[2:3], v[24:25]
	v_add_f64 v[10:11], v[10:11], v[26:27]
	v_fma_f64 v[26:27], v[36:37], s[2:3], v[14:15]
	v_add_f64 v[32:33], v[0:1], v[2:3]
	v_mul_f64 v[24:25], v[34:35], -0.5
	v_mul_f64 v[28:29], v[16:17], 0.5
	v_fma_f64 v[20:21], v[30:31], -0.5, v[20:21]
	v_mul_f64 v[30:31], v[34:35], s[2:3]
	v_mul_f64 v[16:17], v[16:17], s[2:3]
	v_add_f64 v[0:1], v[10:11], -v[4:5]
	v_add_f64 v[4:5], v[10:11], v[4:5]
	v_fma_f64 v[34:35], v[36:37], s[8:9], v[14:15]
	v_add_f64 v[6:7], v[12:13], v[32:33]
	v_add_f64 v[2:3], v[12:13], -v[32:33]
	v_fma_f64 v[24:25], v[18:19], s[8:9], v[24:25]
	v_fma_f64 v[28:29], v[22:23], s[8:9], v[28:29]
	;; [unrolled: 1-line block ×3, first 2 shown]
	v_fma_f64 v[30:31], v[18:19], -0.5, v[30:31]
	v_fma_f64 v[8:9], v[8:9], s[2:3], v[20:21]
	v_fma_f64 v[38:39], v[22:23], 0.5, v[16:17]
	v_add_f64 v[10:11], v[26:27], -v[24:25]
	v_add_f64 v[18:19], v[26:27], v[24:25]
	buffer_load_dword v25, off, s[60:63], 0 offset:28 ; 4-byte Folded Reload
	v_add_f64 v[22:23], v[34:35], v[28:29]
	v_add_f64 v[16:17], v[36:37], v[30:31]
	;; [unrolled: 1-line block ×3, first 2 shown]
	v_add_f64 v[14:15], v[34:35], -v[28:29]
	v_add_f64 v[12:13], v[8:9], -v[38:39]
	;; [unrolled: 1-line block ×3, first 2 shown]
	v_mov_b32_e32 v24, 4
	s_waitcnt vmcnt(0)
	v_lshlrev_b32_sdwa v24, v24, v25 dst_sel:DWORD dst_unused:UNUSED_PAD src0_sel:DWORD src1_sel:WORD_0
	ds_write_b128 v24, v[4:7] offset:19584
	ds_write_b128 v24, v[0:3] offset:22032
	ds_write_b128 v24, v[20:23] offset:20400
	ds_write_b128 v24, v[16:19] offset:21216
	ds_write_b128 v24, v[12:15] offset:22848
	ds_write_b128 v24, v[8:11] offset:23664
.LBB0_21:
	s_or_b32 exec_lo, exec_lo, s1
	s_waitcnt vmcnt(0) lgkmcnt(0)
	s_barrier
	buffer_gl0_inv
	ds_read_b128 v[0:3], v248 offset:9792
	ds_read_b128 v[4:7], v248 offset:14688
	;; [unrolled: 1-line block ×4, first 2 shown]
	ds_read_b128 v[16:19], v248
	ds_read_b128 v[20:23], v248 offset:1632
	ds_read_b128 v[24:27], v248 offset:11424
	;; [unrolled: 1-line block ×10, first 2 shown]
	s_mov_b32 s8, 0x134454ff
	s_mov_b32 s9, 0xbfee6f0e
	;; [unrolled: 1-line block ×8, first 2 shown]
	s_waitcnt lgkmcnt(14)
	v_mul_f64 v[60:61], v[114:115], v[2:3]
	s_waitcnt lgkmcnt(13)
	v_mul_f64 v[62:63], v[110:111], v[6:7]
	s_waitcnt lgkmcnt(12)
	v_mul_f64 v[64:65], v[102:103], v[10:11]
	s_waitcnt lgkmcnt(11)
	v_mul_f64 v[66:67], v[106:107], v[14:15]
	v_mul_f64 v[68:69], v[114:115], v[0:1]
	v_mul_f64 v[70:71], v[110:111], v[4:5]
	v_mul_f64 v[72:73], v[102:103], v[8:9]
	v_mul_f64 v[74:75], v[106:107], v[12:13]
	s_waitcnt lgkmcnt(7)
	v_mul_f64 v[78:79], v[134:135], v[28:29]
	s_waitcnt lgkmcnt(3)
	v_mul_f64 v[80:81], v[146:147], v[46:47]
	v_mul_f64 v[76:77], v[130:131], v[42:43]
	s_waitcnt lgkmcnt(1)
	v_mul_f64 v[90:91], v[150:151], v[52:53]
	v_mul_f64 v[84:85], v[142:143], v[38:39]
	;; [unrolled: 1-line block ×5, first 2 shown]
	s_waitcnt lgkmcnt(0)
	v_mul_f64 v[92:93], v[138:139], v[56:57]
	s_mov_b32 s0, 0x372fe950
	s_mov_b32 s1, 0x3fd3c6ef
	v_fma_f64 v[0:1], v[112:113], v[0:1], v[60:61]
	v_fma_f64 v[4:5], v[108:109], v[4:5], v[62:63]
	v_fma_f64 v[8:9], v[100:101], v[8:9], v[64:65]
	v_fma_f64 v[12:13], v[104:105], v[12:13], v[66:67]
	v_fma_f64 v[2:3], v[112:113], v[2:3], -v[68:69]
	v_fma_f64 v[6:7], v[108:109], v[6:7], -v[70:71]
	v_mul_f64 v[62:63], v[126:127], v[26:27]
	v_mul_f64 v[66:67], v[122:123], v[50:51]
	;; [unrolled: 1-line block ×6, first 2 shown]
	v_fma_f64 v[10:11], v[100:101], v[10:11], -v[72:73]
	v_fma_f64 v[14:15], v[104:105], v[14:15], -v[74:75]
	v_fma_f64 v[40:41], v[128:129], v[40:41], v[76:77]
	v_mul_f64 v[72:73], v[138:139], v[58:59]
	v_fma_f64 v[30:31], v[132:133], v[30:31], -v[78:79]
	v_fma_f64 v[44:45], v[144:145], v[44:45], v[80:81]
	v_fma_f64 v[54:55], v[148:149], v[54:55], -v[90:91]
	v_fma_f64 v[36:37], v[140:141], v[36:37], v[84:85]
	v_fma_f64 v[38:39], v[140:141], v[38:39], -v[86:87]
	v_fma_f64 v[46:47], v[144:145], v[46:47], -v[82:83]
	v_fma_f64 v[52:53], v[148:149], v[52:53], v[88:89]
	v_add_f64 v[74:75], v[0:1], v[4:5]
	v_add_f64 v[84:85], v[0:1], -v[4:5]
	v_add_f64 v[94:95], v[8:9], v[12:13]
	v_add_f64 v[78:79], v[12:13], -v[4:5]
	v_add_f64 v[76:77], v[2:3], v[6:7]
	v_fma_f64 v[24:25], v[124:125], v[24:25], v[62:63]
	v_fma_f64 v[48:49], v[120:121], v[48:49], v[66:67]
	;; [unrolled: 1-line block ×3, first 2 shown]
	v_fma_f64 v[42:43], v[128:129], v[42:43], -v[60:61]
	v_fma_f64 v[26:27], v[124:125], v[26:27], -v[64:65]
	;; [unrolled: 1-line block ×3, first 2 shown]
	v_add_f64 v[60:61], v[16:17], v[8:9]
	v_add_f64 v[62:63], v[10:11], -v[14:15]
	v_add_f64 v[64:65], v[18:19], v[10:11]
	v_add_f64 v[66:67], v[10:11], v[14:15]
	v_add_f64 v[70:71], v[2:3], -v[6:7]
	v_fma_f64 v[56:57], v[136:137], v[56:57], v[72:73]
	v_add_f64 v[72:73], v[8:9], -v[0:1]
	v_add_f64 v[86:87], v[10:11], -v[2:3]
	v_add_f64 v[10:11], v[2:3], -v[10:11]
	v_add_f64 v[82:83], v[4:5], -v[12:13]
	v_add_f64 v[88:89], v[14:15], -v[6:7]
	v_fma_f64 v[68:69], v[74:75], -0.5, v[16:17]
	v_add_f64 v[74:75], v[8:9], -v[12:13]
	v_fma_f64 v[16:17], v[94:95], -0.5, v[16:17]
	v_add_f64 v[8:9], v[0:1], -v[8:9]
	v_fma_f64 v[76:77], v[76:77], -0.5, v[18:19]
	v_add_f64 v[94:95], v[20:21], v[40:41]
	v_add_f64 v[80:81], v[24:25], v[48:49]
	v_add_f64 v[90:91], v[40:41], v[28:29]
	v_add_f64 v[96:97], v[42:43], -v[30:31]
	v_fma_f64 v[58:59], v[136:137], v[58:59], -v[92:93]
	v_add_f64 v[98:99], v[26:27], -v[50:51]
	v_add_f64 v[0:1], v[60:61], v[0:1]
	v_add_f64 v[110:111], v[26:27], v[50:51]
	;; [unrolled: 1-line block ×3, first 2 shown]
	v_fma_f64 v[18:19], v[66:67], -0.5, v[18:19]
	v_add_f64 v[92:93], v[6:7], -v[14:15]
	v_add_f64 v[108:109], v[22:23], v[42:43]
	v_add_f64 v[72:73], v[72:73], v[78:79]
	v_add_f64 v[100:101], v[40:41], -v[24:25]
	v_add_f64 v[104:105], v[24:25], -v[40:41]
	;; [unrolled: 1-line block ×4, first 2 shown]
	v_fma_f64 v[60:61], v[62:63], s[8:9], v[68:69]
	v_fma_f64 v[64:65], v[62:63], s[16:17], v[68:69]
	v_fma_f64 v[66:67], v[70:71], s[16:17], v[16:17]
	v_fma_f64 v[16:17], v[70:71], s[8:9], v[16:17]
	v_fma_f64 v[68:69], v[74:75], s[16:17], v[76:77]
	v_fma_f64 v[76:77], v[74:75], s[8:9], v[76:77]
	v_fma_f64 v[80:81], v[80:81], -0.5, v[20:21]
	v_fma_f64 v[20:21], v[90:91], -0.5, v[20:21]
	v_add_f64 v[78:79], v[8:9], v[82:83]
	v_add_f64 v[82:83], v[86:87], v[88:89]
	;; [unrolled: 1-line block ×6, first 2 shown]
	v_fma_f64 v[4:5], v[84:85], s[8:9], v[18:19]
	v_fma_f64 v[18:19], v[84:85], s[16:17], v[18:19]
	v_add_f64 v[92:93], v[10:11], v[92:93]
	v_add_f64 v[106:107], v[48:49], -v[28:29]
	v_add_f64 v[112:113], v[46:47], -v[38:39]
	;; [unrolled: 1-line block ×3, first 2 shown]
	v_fma_f64 v[6:7], v[70:71], s[2:3], v[60:61]
	v_fma_f64 v[8:9], v[70:71], s[10:11], v[64:65]
	;; [unrolled: 1-line block ×5, first 2 shown]
	v_add_f64 v[68:69], v[42:43], v[30:31]
	v_fma_f64 v[64:65], v[84:85], s[2:3], v[76:77]
	v_add_f64 v[66:67], v[94:95], v[24:25]
	v_fma_f64 v[70:71], v[96:97], s[8:9], v[80:81]
	;; [unrolled: 2-line block ×4, first 2 shown]
	v_fma_f64 v[94:95], v[110:111], -0.5, v[22:23]
	v_add_f64 v[24:25], v[24:25], -v[48:49]
	v_add_f64 v[0:1], v[0:1], v[12:13]
	v_add_f64 v[2:3], v[2:3], v[14:15]
	v_fma_f64 v[14:15], v[74:75], s[10:11], v[4:5]
	v_fma_f64 v[18:19], v[74:75], s[2:3], v[18:19]
	v_add_f64 v[74:75], v[38:39], -v[54:55]
	v_fma_f64 v[20:21], v[98:99], s[8:9], v[20:21]
	v_fma_f64 v[4:5], v[72:73], s[0:1], v[6:7]
	;; [unrolled: 1-line block ×5, first 2 shown]
	v_add_f64 v[78:79], v[34:35], v[46:47]
	v_fma_f64 v[22:23], v[68:69], -0.5, v[22:23]
	v_fma_f64 v[10:11], v[82:83], s[0:1], v[64:65]
	v_add_f64 v[64:65], v[32:33], v[44:45]
	v_fma_f64 v[6:7], v[82:83], s[0:1], v[62:63]
	v_add_f64 v[60:61], v[66:67], v[48:49]
	v_fma_f64 v[48:49], v[98:99], s[2:3], v[70:71]
	v_fma_f64 v[66:67], v[76:77], -0.5, v[32:33]
	v_add_f64 v[68:69], v[46:47], -v[58:59]
	v_fma_f64 v[70:71], v[98:99], s[10:11], v[80:81]
	v_fma_f64 v[80:81], v[86:87], -0.5, v[34:35]
	v_add_f64 v[82:83], v[44:45], -v[56:57]
	v_fma_f64 v[32:33], v[84:85], -0.5, v[32:33]
	v_add_f64 v[86:87], v[36:37], -v[52:53]
	v_fma_f64 v[34:35], v[88:89], -0.5, v[34:35]
	v_add_f64 v[84:85], v[108:109], v[26:27]
	v_fma_f64 v[72:73], v[96:97], s[2:3], v[90:91]
	v_fma_f64 v[88:89], v[40:41], s[16:17], v[94:95]
	v_add_f64 v[90:91], v[42:43], -v[26:27]
	v_add_f64 v[98:99], v[30:31], -v[50:51]
	v_add_f64 v[62:63], v[100:101], v[102:103]
	v_fma_f64 v[94:95], v[40:41], s[8:9], v[94:95]
	v_add_f64 v[26:27], v[26:27], -v[42:43]
	v_fma_f64 v[100:101], v[24:25], s[8:9], v[22:23]
	v_add_f64 v[42:43], v[50:51], -v[30:31]
	v_fma_f64 v[22:23], v[24:25], s[16:17], v[22:23]
	v_add_f64 v[64:65], v[64:65], v[36:37]
	v_add_f64 v[78:79], v[78:79], v[38:39]
	;; [unrolled: 1-line block ×3, first 2 shown]
	v_add_f64 v[104:105], v[44:45], -v[36:37]
	v_fma_f64 v[102:103], v[68:69], s[8:9], v[66:67]
	v_add_f64 v[106:107], v[56:57], -v[52:53]
	v_fma_f64 v[66:67], v[68:69], s[16:17], v[66:67]
	v_fma_f64 v[110:111], v[82:83], s[16:17], v[80:81]
	;; [unrolled: 1-line block ×3, first 2 shown]
	v_add_f64 v[36:37], v[36:37], -v[44:45]
	v_add_f64 v[44:45], v[52:53], -v[56:57]
	v_fma_f64 v[116:117], v[86:87], s[8:9], v[34:35]
	v_add_f64 v[38:39], v[38:39], -v[46:47]
	v_add_f64 v[46:47], v[54:55], -v[58:59]
	v_fma_f64 v[32:33], v[74:75], s[8:9], v[32:33]
	v_fma_f64 v[34:35], v[86:87], s[16:17], v[34:35]
	;; [unrolled: 1-line block ×3, first 2 shown]
	v_add_f64 v[50:51], v[84:85], v[50:51]
	v_fma_f64 v[84:85], v[24:25], s[10:11], v[88:89]
	v_add_f64 v[88:89], v[90:91], v[98:99]
	v_fma_f64 v[90:91], v[24:25], s[2:3], v[94:95]
	v_fma_f64 v[94:95], v[40:41], s[10:11], v[100:101]
	v_add_f64 v[42:43], v[26:27], v[42:43]
	v_fma_f64 v[96:97], v[96:97], s[10:11], v[20:21]
	v_fma_f64 v[40:41], v[40:41], s[2:3], v[22:23]
	v_add_f64 v[52:53], v[64:65], v[52:53]
	v_add_f64 v[54:55], v[78:79], v[54:55]
	v_fma_f64 v[64:65], v[74:75], s[2:3], v[102:103]
	v_add_f64 v[98:99], v[104:105], v[106:107]
	v_fma_f64 v[78:79], v[86:87], s[10:11], v[110:111]
	;; [unrolled: 2-line block ×3, first 2 shown]
	v_fma_f64 v[74:75], v[68:69], s[2:3], v[108:109]
	v_add_f64 v[100:101], v[36:37], v[44:45]
	v_fma_f64 v[104:105], v[82:83], s[10:11], v[116:117]
	v_add_f64 v[106:107], v[38:39], v[46:47]
	v_fma_f64 v[68:69], v[68:69], s[10:11], v[32:33]
	v_fma_f64 v[82:83], v[82:83], s[2:3], v[34:35]
	;; [unrolled: 1-line block ×5, first 2 shown]
	v_add_f64 v[20:21], v[60:61], v[28:29]
	v_add_f64 v[22:23], v[50:51], v[30:31]
	v_fma_f64 v[24:25], v[62:63], s[0:1], v[48:49]
	v_fma_f64 v[26:27], v[88:89], s[0:1], v[84:85]
	;; [unrolled: 1-line block ×8, first 2 shown]
	v_add_f64 v[40:41], v[52:53], v[56:57]
	v_add_f64 v[42:43], v[54:55], v[58:59]
	v_fma_f64 v[44:45], v[98:99], s[0:1], v[64:65]
	v_fma_f64 v[46:47], v[102:103], s[0:1], v[78:79]
	;; [unrolled: 1-line block ×8, first 2 shown]
	ds_write_b128 v248, v[0:3]
	ds_write_b128 v248, v[4:7] offset:4896
	ds_write_b128 v248, v[12:15] offset:9792
	;; [unrolled: 1-line block ×14, first 2 shown]
	s_waitcnt lgkmcnt(0)
	s_barrier
	buffer_gl0_inv
	s_and_b32 exec_lo, exec_lo, vcc_lo
	s_cbranch_execz .LBB0_23
; %bb.22:
	global_load_dwordx4 v[0:3], v255, s[12:13]
	ds_read_b128 v[4:7], v248
	ds_read_b128 v[8:11], v255 offset:1440
	ds_read_b128 v[12:15], v255 offset:23040
	s_clause 0x1
	buffer_load_dword v18, off, s[60:63], 0
	buffer_load_dword v19, off, s[60:63], 0 offset:4
	s_mov_b32 s0, 0x156ac015
	s_mov_b32 s1, 0x3f456ac0
	v_add_co_u32 v22, s2, s12, v255
	v_add_co_ci_u32_e64 v23, null, s13, 0, s2
	s_mul_i32 s2, s5, 0x5a0
	s_mul_i32 s3, s4, 0x5a0
	s_waitcnt vmcnt(2) lgkmcnt(2)
	v_mul_f64 v[16:17], v[6:7], v[2:3]
	v_mul_f64 v[2:3], v[4:5], v[2:3]
	s_waitcnt vmcnt(1)
	v_mov_b32_e32 v20, v18
	s_waitcnt vmcnt(0)
	v_mad_u64_u32 v[18:19], null, s6, v20, 0
	v_fma_f64 v[4:5], v[4:5], v[0:1], v[16:17]
	v_fma_f64 v[2:3], v[0:1], v[6:7], -v[2:3]
	v_mad_u64_u32 v[6:7], null, s4, v118, 0
	v_mov_b32_e32 v0, v19
	v_mov_b32_e32 v1, v7
	v_mad_u64_u32 v[16:17], null, s7, v20, v[0:1]
	v_mov_b32_e32 v19, v16
	v_mad_u64_u32 v[20:21], null, s5, v118, v[1:2]
	v_mul_f64 v[0:1], v[4:5], s[0:1]
	v_mul_f64 v[2:3], v[2:3], s[0:1]
	v_lshlrev_b64 v[4:5], 4, v[18:19]
	s_mul_hi_u32 s5, s4, 0x5a0
	s_add_i32 s2, s5, s2
	v_mov_b32_e32 v7, v20
	v_add_co_u32 v4, vcc_lo, s14, v4
	v_add_co_ci_u32_e32 v5, vcc_lo, s15, v5, vcc_lo
	v_lshlrev_b64 v[6:7], 4, v[6:7]
	v_add_co_u32 v4, vcc_lo, v4, v6
	v_add_co_ci_u32_e32 v5, vcc_lo, v5, v7, vcc_lo
	v_add_co_u32 v16, vcc_lo, v4, s3
	global_store_dwordx4 v[4:5], v[0:3], off
	global_load_dwordx4 v[0:3], v255, s[12:13] offset:1440
	v_add_co_ci_u32_e32 v17, vcc_lo, s2, v5, vcc_lo
	v_add_co_u32 v4, vcc_lo, 0x800, v22
	v_add_co_ci_u32_e32 v5, vcc_lo, 0, v23, vcc_lo
	s_waitcnt vmcnt(0) lgkmcnt(1)
	v_mul_f64 v[6:7], v[10:11], v[2:3]
	v_mul_f64 v[2:3], v[8:9], v[2:3]
	v_fma_f64 v[6:7], v[8:9], v[0:1], v[6:7]
	v_fma_f64 v[2:3], v[0:1], v[10:11], -v[2:3]
	v_mul_f64 v[0:1], v[6:7], s[0:1]
	v_mul_f64 v[2:3], v[2:3], s[0:1]
	global_store_dwordx4 v[16:17], v[0:3], off
	global_load_dwordx4 v[0:3], v[4:5], off offset:832
	ds_read_b128 v[4:7], v255 offset:2880
	ds_read_b128 v[8:11], v255 offset:4320
	s_waitcnt vmcnt(0) lgkmcnt(1)
	v_mul_f64 v[18:19], v[6:7], v[2:3]
	v_mul_f64 v[2:3], v[4:5], v[2:3]
	v_fma_f64 v[4:5], v[4:5], v[0:1], v[18:19]
	v_fma_f64 v[2:3], v[0:1], v[6:7], -v[2:3]
	v_mul_f64 v[0:1], v[4:5], s[0:1]
	v_mul_f64 v[2:3], v[2:3], s[0:1]
	v_add_co_u32 v4, vcc_lo, v16, s3
	v_add_co_ci_u32_e32 v5, vcc_lo, s2, v17, vcc_lo
	v_add_co_u32 v6, vcc_lo, 0x1000, v22
	v_add_co_ci_u32_e32 v7, vcc_lo, 0, v23, vcc_lo
	global_store_dwordx4 v[4:5], v[0:3], off
	global_load_dwordx4 v[0:3], v[6:7], off offset:224
	s_waitcnt vmcnt(0) lgkmcnt(0)
	v_mul_f64 v[16:17], v[10:11], v[2:3]
	v_mul_f64 v[2:3], v[8:9], v[2:3]
	v_fma_f64 v[8:9], v[8:9], v[0:1], v[16:17]
	v_fma_f64 v[2:3], v[0:1], v[10:11], -v[2:3]
	v_add_co_u32 v16, vcc_lo, v4, s3
	v_add_co_ci_u32_e32 v17, vcc_lo, s2, v5, vcc_lo
	v_mul_f64 v[0:1], v[8:9], s[0:1]
	v_mul_f64 v[2:3], v[2:3], s[0:1]
	global_store_dwordx4 v[16:17], v[0:3], off
	global_load_dwordx4 v[0:3], v[6:7], off offset:1664
	ds_read_b128 v[4:7], v255 offset:5760
	ds_read_b128 v[8:11], v255 offset:7200
	s_waitcnt vmcnt(0) lgkmcnt(1)
	v_mul_f64 v[18:19], v[6:7], v[2:3]
	v_mul_f64 v[2:3], v[4:5], v[2:3]
	v_fma_f64 v[4:5], v[4:5], v[0:1], v[18:19]
	v_fma_f64 v[2:3], v[0:1], v[6:7], -v[2:3]
	v_mul_f64 v[0:1], v[4:5], s[0:1]
	v_mul_f64 v[2:3], v[2:3], s[0:1]
	v_add_co_u32 v4, vcc_lo, v16, s3
	v_add_co_ci_u32_e32 v5, vcc_lo, s2, v17, vcc_lo
	v_add_co_u32 v6, vcc_lo, 0x1800, v22
	v_add_co_ci_u32_e32 v7, vcc_lo, 0, v23, vcc_lo
	;; [unrolled: 2-line block ×4, first 2 shown]
	global_store_dwordx4 v[4:5], v[0:3], off
	global_load_dwordx4 v[0:3], v[6:7], off offset:1056
	s_waitcnt vmcnt(0) lgkmcnt(0)
	v_mul_f64 v[6:7], v[10:11], v[2:3]
	v_mul_f64 v[2:3], v[8:9], v[2:3]
	v_fma_f64 v[6:7], v[8:9], v[0:1], v[6:7]
	v_fma_f64 v[2:3], v[0:1], v[10:11], -v[2:3]
	v_mul_f64 v[0:1], v[6:7], s[0:1]
	v_mul_f64 v[2:3], v[2:3], s[0:1]
	global_store_dwordx4 v[16:17], v[0:3], off
	global_load_dwordx4 v[0:3], v[18:19], off offset:448
	ds_read_b128 v[4:7], v255 offset:8640
	ds_read_b128 v[8:11], v255 offset:10080
	s_waitcnt vmcnt(0) lgkmcnt(1)
	v_mul_f64 v[20:21], v[6:7], v[2:3]
	v_mul_f64 v[2:3], v[4:5], v[2:3]
	v_fma_f64 v[4:5], v[4:5], v[0:1], v[20:21]
	v_fma_f64 v[2:3], v[0:1], v[6:7], -v[2:3]
	v_mul_f64 v[0:1], v[4:5], s[0:1]
	v_mul_f64 v[2:3], v[2:3], s[0:1]
	v_add_co_u32 v4, vcc_lo, v16, s3
	v_add_co_ci_u32_e32 v5, vcc_lo, s2, v17, vcc_lo
	v_add_co_u32 v16, vcc_lo, v4, s3
	v_add_co_ci_u32_e32 v17, vcc_lo, s2, v5, vcc_lo
	global_store_dwordx4 v[4:5], v[0:3], off
	global_load_dwordx4 v[0:3], v[18:19], off offset:1888
	v_add_co_u32 v4, vcc_lo, 0x2800, v22
	v_add_co_ci_u32_e32 v5, vcc_lo, 0, v23, vcc_lo
	s_waitcnt vmcnt(0) lgkmcnt(0)
	v_mul_f64 v[6:7], v[10:11], v[2:3]
	v_mul_f64 v[2:3], v[8:9], v[2:3]
	v_fma_f64 v[6:7], v[8:9], v[0:1], v[6:7]
	v_fma_f64 v[2:3], v[0:1], v[10:11], -v[2:3]
	v_mul_f64 v[0:1], v[6:7], s[0:1]
	v_mul_f64 v[2:3], v[2:3], s[0:1]
	global_store_dwordx4 v[16:17], v[0:3], off
	global_load_dwordx4 v[0:3], v[4:5], off offset:1280
	ds_read_b128 v[4:7], v255 offset:11520
	ds_read_b128 v[8:11], v255 offset:12960
	s_waitcnt vmcnt(0) lgkmcnt(1)
	v_mul_f64 v[18:19], v[6:7], v[2:3]
	v_mul_f64 v[2:3], v[4:5], v[2:3]
	v_fma_f64 v[4:5], v[4:5], v[0:1], v[18:19]
	v_fma_f64 v[2:3], v[0:1], v[6:7], -v[2:3]
	v_mul_f64 v[0:1], v[4:5], s[0:1]
	v_mul_f64 v[2:3], v[2:3], s[0:1]
	v_add_co_u32 v4, vcc_lo, v16, s3
	v_add_co_ci_u32_e32 v5, vcc_lo, s2, v17, vcc_lo
	v_add_co_u32 v6, vcc_lo, 0x3000, v22
	v_add_co_ci_u32_e32 v7, vcc_lo, 0, v23, vcc_lo
	;; [unrolled: 2-line block ×4, first 2 shown]
	global_store_dwordx4 v[4:5], v[0:3], off
	global_load_dwordx4 v[0:3], v[6:7], off offset:672
	s_waitcnt vmcnt(0) lgkmcnt(0)
	v_mul_f64 v[6:7], v[10:11], v[2:3]
	v_mul_f64 v[2:3], v[8:9], v[2:3]
	v_fma_f64 v[6:7], v[8:9], v[0:1], v[6:7]
	v_fma_f64 v[2:3], v[0:1], v[10:11], -v[2:3]
	v_mul_f64 v[0:1], v[6:7], s[0:1]
	v_mul_f64 v[2:3], v[2:3], s[0:1]
	global_store_dwordx4 v[16:17], v[0:3], off
	global_load_dwordx4 v[0:3], v[18:19], off offset:64
	ds_read_b128 v[4:7], v255 offset:14400
	ds_read_b128 v[8:11], v255 offset:15840
	s_waitcnt vmcnt(0) lgkmcnt(1)
	v_mul_f64 v[20:21], v[6:7], v[2:3]
	v_mul_f64 v[2:3], v[4:5], v[2:3]
	v_fma_f64 v[4:5], v[4:5], v[0:1], v[20:21]
	v_fma_f64 v[2:3], v[0:1], v[6:7], -v[2:3]
	v_mul_f64 v[0:1], v[4:5], s[0:1]
	v_mul_f64 v[2:3], v[2:3], s[0:1]
	v_add_co_u32 v4, vcc_lo, v16, s3
	v_add_co_ci_u32_e32 v5, vcc_lo, s2, v17, vcc_lo
	v_add_co_u32 v16, vcc_lo, v4, s3
	v_add_co_ci_u32_e32 v17, vcc_lo, s2, v5, vcc_lo
	global_store_dwordx4 v[4:5], v[0:3], off
	global_load_dwordx4 v[0:3], v[18:19], off offset:1504
	v_add_co_u32 v4, vcc_lo, 0x4000, v22
	v_add_co_ci_u32_e32 v5, vcc_lo, 0, v23, vcc_lo
	s_waitcnt vmcnt(0) lgkmcnt(0)
	v_mul_f64 v[6:7], v[10:11], v[2:3]
	v_mul_f64 v[2:3], v[8:9], v[2:3]
	v_fma_f64 v[6:7], v[8:9], v[0:1], v[6:7]
	v_fma_f64 v[2:3], v[0:1], v[10:11], -v[2:3]
	v_mul_f64 v[0:1], v[6:7], s[0:1]
	v_mul_f64 v[2:3], v[2:3], s[0:1]
	global_store_dwordx4 v[16:17], v[0:3], off
	global_load_dwordx4 v[0:3], v[4:5], off offset:896
	ds_read_b128 v[4:7], v255 offset:17280
	ds_read_b128 v[8:11], v255 offset:18720
	s_waitcnt vmcnt(0) lgkmcnt(1)
	v_mul_f64 v[18:19], v[6:7], v[2:3]
	v_mul_f64 v[2:3], v[4:5], v[2:3]
	v_fma_f64 v[4:5], v[4:5], v[0:1], v[18:19]
	v_fma_f64 v[2:3], v[0:1], v[6:7], -v[2:3]
	v_mul_f64 v[0:1], v[4:5], s[0:1]
	v_mul_f64 v[2:3], v[2:3], s[0:1]
	v_add_co_u32 v4, vcc_lo, v16, s3
	v_add_co_ci_u32_e32 v5, vcc_lo, s2, v17, vcc_lo
	v_add_co_u32 v6, vcc_lo, 0x4800, v22
	v_add_co_ci_u32_e32 v7, vcc_lo, 0, v23, vcc_lo
	global_store_dwordx4 v[4:5], v[0:3], off
	global_load_dwordx4 v[0:3], v[6:7], off offset:288
	s_waitcnt vmcnt(0) lgkmcnt(0)
	v_mul_f64 v[16:17], v[10:11], v[2:3]
	v_mul_f64 v[2:3], v[8:9], v[2:3]
	v_fma_f64 v[8:9], v[8:9], v[0:1], v[16:17]
	v_fma_f64 v[2:3], v[0:1], v[10:11], -v[2:3]
	v_add_co_u32 v16, vcc_lo, v4, s3
	v_add_co_ci_u32_e32 v17, vcc_lo, s2, v5, vcc_lo
	v_mul_f64 v[0:1], v[8:9], s[0:1]
	v_mul_f64 v[2:3], v[2:3], s[0:1]
	global_store_dwordx4 v[16:17], v[0:3], off
	global_load_dwordx4 v[0:3], v[6:7], off offset:1728
	ds_read_b128 v[4:7], v255 offset:20160
	ds_read_b128 v[8:11], v255 offset:21600
	s_waitcnt vmcnt(0) lgkmcnt(1)
	v_mul_f64 v[18:19], v[6:7], v[2:3]
	v_mul_f64 v[2:3], v[4:5], v[2:3]
	v_fma_f64 v[4:5], v[4:5], v[0:1], v[18:19]
	v_fma_f64 v[2:3], v[0:1], v[6:7], -v[2:3]
	v_mul_f64 v[0:1], v[4:5], s[0:1]
	v_mul_f64 v[2:3], v[2:3], s[0:1]
	v_add_co_u32 v4, vcc_lo, v16, s3
	v_add_co_ci_u32_e32 v5, vcc_lo, s2, v17, vcc_lo
	v_add_co_u32 v6, vcc_lo, 0x5000, v22
	v_add_co_ci_u32_e32 v7, vcc_lo, 0, v23, vcc_lo
	global_store_dwordx4 v[4:5], v[0:3], off
	global_load_dwordx4 v[0:3], v[6:7], off offset:1120
	v_add_co_u32 v4, vcc_lo, v4, s3
	v_add_co_ci_u32_e32 v5, vcc_lo, s2, v5, vcc_lo
	s_waitcnt vmcnt(0) lgkmcnt(0)
	v_mul_f64 v[6:7], v[10:11], v[2:3]
	v_mul_f64 v[2:3], v[8:9], v[2:3]
	v_fma_f64 v[6:7], v[8:9], v[0:1], v[6:7]
	v_fma_f64 v[2:3], v[0:1], v[10:11], -v[2:3]
	v_mul_f64 v[0:1], v[6:7], s[0:1]
	v_mul_f64 v[2:3], v[2:3], s[0:1]
	v_add_co_u32 v6, vcc_lo, 0x5800, v22
	v_add_co_ci_u32_e32 v7, vcc_lo, 0, v23, vcc_lo
	global_store_dwordx4 v[4:5], v[0:3], off
	global_load_dwordx4 v[0:3], v[6:7], off offset:512
	v_add_co_u32 v4, vcc_lo, v4, s3
	v_add_co_ci_u32_e32 v5, vcc_lo, s2, v5, vcc_lo
	s_waitcnt vmcnt(0)
	v_mul_f64 v[6:7], v[14:15], v[2:3]
	v_mul_f64 v[2:3], v[12:13], v[2:3]
	v_fma_f64 v[6:7], v[12:13], v[0:1], v[6:7]
	v_fma_f64 v[2:3], v[0:1], v[14:15], -v[2:3]
	v_mul_f64 v[0:1], v[6:7], s[0:1]
	v_mul_f64 v[2:3], v[2:3], s[0:1]
	global_store_dwordx4 v[4:5], v[0:3], off
.LBB0_23:
	s_endpgm
	.section	.rodata,"a",@progbits
	.p2align	6, 0x0
	.amdhsa_kernel bluestein_single_back_len1530_dim1_dp_op_CI_CI
		.amdhsa_group_segment_fixed_size 24480
		.amdhsa_private_segment_fixed_size 584
		.amdhsa_kernarg_size 104
		.amdhsa_user_sgpr_count 6
		.amdhsa_user_sgpr_private_segment_buffer 1
		.amdhsa_user_sgpr_dispatch_ptr 0
		.amdhsa_user_sgpr_queue_ptr 0
		.amdhsa_user_sgpr_kernarg_segment_ptr 1
		.amdhsa_user_sgpr_dispatch_id 0
		.amdhsa_user_sgpr_flat_scratch_init 0
		.amdhsa_user_sgpr_private_segment_size 0
		.amdhsa_wavefront_size32 1
		.amdhsa_uses_dynamic_stack 0
		.amdhsa_system_sgpr_private_segment_wavefront_offset 1
		.amdhsa_system_sgpr_workgroup_id_x 1
		.amdhsa_system_sgpr_workgroup_id_y 0
		.amdhsa_system_sgpr_workgroup_id_z 0
		.amdhsa_system_sgpr_workgroup_info 0
		.amdhsa_system_vgpr_workitem_id 0
		.amdhsa_next_free_vgpr 256
		.amdhsa_next_free_sgpr 64
		.amdhsa_reserve_vcc 1
		.amdhsa_reserve_flat_scratch 0
		.amdhsa_float_round_mode_32 0
		.amdhsa_float_round_mode_16_64 0
		.amdhsa_float_denorm_mode_32 3
		.amdhsa_float_denorm_mode_16_64 3
		.amdhsa_dx10_clamp 1
		.amdhsa_ieee_mode 1
		.amdhsa_fp16_overflow 0
		.amdhsa_workgroup_processor_mode 1
		.amdhsa_memory_ordered 1
		.amdhsa_forward_progress 0
		.amdhsa_shared_vgpr_count 0
		.amdhsa_exception_fp_ieee_invalid_op 0
		.amdhsa_exception_fp_denorm_src 0
		.amdhsa_exception_fp_ieee_div_zero 0
		.amdhsa_exception_fp_ieee_overflow 0
		.amdhsa_exception_fp_ieee_underflow 0
		.amdhsa_exception_fp_ieee_inexact 0
		.amdhsa_exception_int_div_zero 0
	.end_amdhsa_kernel
	.text
.Lfunc_end0:
	.size	bluestein_single_back_len1530_dim1_dp_op_CI_CI, .Lfunc_end0-bluestein_single_back_len1530_dim1_dp_op_CI_CI
                                        ; -- End function
	.section	.AMDGPU.csdata,"",@progbits
; Kernel info:
; codeLenInByte = 32916
; NumSgprs: 66
; NumVgprs: 256
; ScratchSize: 584
; MemoryBound: 0
; FloatMode: 240
; IeeeMode: 1
; LDSByteSize: 24480 bytes/workgroup (compile time only)
; SGPRBlocks: 8
; VGPRBlocks: 31
; NumSGPRsForWavesPerEU: 66
; NumVGPRsForWavesPerEU: 256
; Occupancy: 4
; WaveLimiterHint : 1
; COMPUTE_PGM_RSRC2:SCRATCH_EN: 1
; COMPUTE_PGM_RSRC2:USER_SGPR: 6
; COMPUTE_PGM_RSRC2:TRAP_HANDLER: 0
; COMPUTE_PGM_RSRC2:TGID_X_EN: 1
; COMPUTE_PGM_RSRC2:TGID_Y_EN: 0
; COMPUTE_PGM_RSRC2:TGID_Z_EN: 0
; COMPUTE_PGM_RSRC2:TIDIG_COMP_CNT: 0
	.text
	.p2alignl 6, 3214868480
	.fill 48, 4, 3214868480
	.type	__hip_cuid_db02a75a6e40d6d9,@object ; @__hip_cuid_db02a75a6e40d6d9
	.section	.bss,"aw",@nobits
	.globl	__hip_cuid_db02a75a6e40d6d9
__hip_cuid_db02a75a6e40d6d9:
	.byte	0                               ; 0x0
	.size	__hip_cuid_db02a75a6e40d6d9, 1

	.ident	"AMD clang version 19.0.0git (https://github.com/RadeonOpenCompute/llvm-project roc-6.4.0 25133 c7fe45cf4b819c5991fe208aaa96edf142730f1d)"
	.section	".note.GNU-stack","",@progbits
	.addrsig
	.addrsig_sym __hip_cuid_db02a75a6e40d6d9
	.amdgpu_metadata
---
amdhsa.kernels:
  - .args:
      - .actual_access:  read_only
        .address_space:  global
        .offset:         0
        .size:           8
        .value_kind:     global_buffer
      - .actual_access:  read_only
        .address_space:  global
        .offset:         8
        .size:           8
        .value_kind:     global_buffer
      - .actual_access:  read_only
        .address_space:  global
        .offset:         16
        .size:           8
        .value_kind:     global_buffer
      - .actual_access:  read_only
        .address_space:  global
        .offset:         24
        .size:           8
        .value_kind:     global_buffer
      - .actual_access:  read_only
        .address_space:  global
        .offset:         32
        .size:           8
        .value_kind:     global_buffer
      - .offset:         40
        .size:           8
        .value_kind:     by_value
      - .address_space:  global
        .offset:         48
        .size:           8
        .value_kind:     global_buffer
      - .address_space:  global
        .offset:         56
        .size:           8
        .value_kind:     global_buffer
      - .address_space:  global
        .offset:         64
        .size:           8
        .value_kind:     global_buffer
      - .address_space:  global
        .offset:         72
        .size:           8
        .value_kind:     global_buffer
      - .offset:         80
        .size:           4
        .value_kind:     by_value
      - .address_space:  global
        .offset:         88
        .size:           8
        .value_kind:     global_buffer
      - .address_space:  global
        .offset:         96
        .size:           8
        .value_kind:     global_buffer
    .group_segment_fixed_size: 24480
    .kernarg_segment_align: 8
    .kernarg_segment_size: 104
    .language:       OpenCL C
    .language_version:
      - 2
      - 0
    .max_flat_workgroup_size: 102
    .name:           bluestein_single_back_len1530_dim1_dp_op_CI_CI
    .private_segment_fixed_size: 584
    .sgpr_count:     66
    .sgpr_spill_count: 0
    .symbol:         bluestein_single_back_len1530_dim1_dp_op_CI_CI.kd
    .uniform_work_group_size: 1
    .uses_dynamic_stack: false
    .vgpr_count:     256
    .vgpr_spill_count: 153
    .wavefront_size: 32
    .workgroup_processor_mode: 1
amdhsa.target:   amdgcn-amd-amdhsa--gfx1030
amdhsa.version:
  - 1
  - 2
...

	.end_amdgpu_metadata
